;; amdgpu-corpus repo=ROCm/rocFFT kind=compiled arch=gfx1030 opt=O3
	.text
	.amdgcn_target "amdgcn-amd-amdhsa--gfx1030"
	.amdhsa_code_object_version 6
	.protected	bluestein_single_fwd_len507_dim1_dp_op_CI_CI ; -- Begin function bluestein_single_fwd_len507_dim1_dp_op_CI_CI
	.globl	bluestein_single_fwd_len507_dim1_dp_op_CI_CI
	.p2align	8
	.type	bluestein_single_fwd_len507_dim1_dp_op_CI_CI,@function
bluestein_single_fwd_len507_dim1_dp_op_CI_CI: ; @bluestein_single_fwd_len507_dim1_dp_op_CI_CI
; %bb.0:
	s_load_dwordx4 s[12:15], s[4:5], 0x28
	v_mul_u32_u24_e32 v1, 0x691, v0
	s_mov_b64 s[50:51], s[2:3]
	s_mov_b64 s[48:49], s[0:1]
	s_add_u32 s48, s48, s7
	v_lshrrev_b32_e32 v1, 16, v1
	s_addc_u32 s49, s49, 0
	v_mad_u64_u32 v[200:201], null, s6, 3, v[1:2]
	v_mov_b32_e32 v201, 0
                                        ; kill: def $vgpr2 killed $sgpr0 killed $exec
	s_mov_b32 s0, exec_lo
	s_waitcnt lgkmcnt(0)
	v_cmpx_gt_u64_e64 s[12:13], v[200:201]
	s_cbranch_execz .LBB0_10
; %bb.1:
	s_clause 0x1
	s_load_dwordx4 s[8:11], s[4:5], 0x18
	s_load_dwordx4 s[0:3], s[4:5], 0x0
	v_mul_lo_u16 v1, v1, 39
	s_mov_b32 s26, 0x42a4c3d2
	s_mov_b32 s30, 0x66966769
	;; [unrolled: 1-line block ×4, first 2 shown]
	v_sub_nc_u16 v16, v0, v1
	s_mov_b32 s23, 0xbfddbe06
	s_mov_b32 s22, 0x4267c47c
	;; [unrolled: 1-line block ×4, first 2 shown]
	v_and_b32_e32 v36, 0xffff, v16
	s_mov_b32 s21, 0xbfe5384d
	s_mov_b32 s29, 0xbfcea1e5
	;; [unrolled: 1-line block ×7, first 2 shown]
	s_waitcnt lgkmcnt(0)
	s_load_dwordx4 s[16:19], s[8:9], 0x0
	s_mov_b32 s36, s20
	s_mov_b32 s35, 0x3fefc445
	;; [unrolled: 1-line block ×4, first 2 shown]
	s_load_dwordx2 s[4:5], s[4:5], 0x38
                                        ; implicit-def: $vgpr144_vgpr145
                                        ; implicit-def: $vgpr148_vgpr149
	s_waitcnt lgkmcnt(0)
	v_mad_u64_u32 v[0:1], null, s18, v200, 0
	v_mad_u64_u32 v[2:3], null, s16, v36, 0
	s_mul_i32 s6, s17, 0x270
	s_mul_hi_u32 s8, s16, 0x270
	s_mul_i32 s7, s16, 0x270
	s_add_i32 s6, s8, s6
	v_mad_u64_u32 v[4:5], null, s19, v200, v[1:2]
	s_mov_b32 s18, 0x2ef20147
	s_mov_b32 s19, 0xbfedeba7
	;; [unrolled: 1-line block ×3, first 2 shown]
	v_mad_u64_u32 v[5:6], null, s17, v36, v[3:4]
	v_mov_b32_e32 v1, v4
	s_mov_b32 s16, 0xd0032e0c
	s_mov_b32 s17, 0xbfe7f3cc
	v_lshlrev_b64 v[0:1], 4, v[0:1]
	v_mov_b32_e32 v3, v5
	v_add_co_u32 v4, vcc_lo, s14, v0
	v_lshlrev_b64 v[2:3], 4, v[2:3]
	v_add_co_ci_u32_e32 v1, vcc_lo, s15, v1, vcc_lo
	v_lshlrev_b32_e32 v0, 4, v36
	s_mov_b32 s14, 0xe00740e9
	s_mov_b32 s15, 0x3fec55a7
	v_add_co_u32 v5, vcc_lo, v4, v2
	v_add_co_ci_u32_e32 v6, vcc_lo, v1, v3, vcc_lo
	global_load_dwordx4 v[50:53], v0, s[0:1]
	global_load_dwordx4 v[1:4], v[5:6], off
	v_add_co_u32 v9, vcc_lo, v5, s7
	v_add_co_ci_u32_e32 v10, vcc_lo, s6, v6, vcc_lo
	global_load_dwordx4 v[54:57], v0, s[0:1] offset:624
	global_load_dwordx4 v[5:8], v[9:10], off
	v_add_co_u32 v13, vcc_lo, v9, s7
	v_add_co_ci_u32_e32 v14, vcc_lo, s6, v10, vcc_lo
	global_load_dwordx4 v[9:12], v[13:14], off
	s_clause 0x1
	global_load_dwordx4 v[66:69], v0, s[0:1] offset:1248
	global_load_dwordx4 v[58:61], v0, s[0:1] offset:1872
	v_add_co_u32 v217, s0, s0, v0
	v_add_co_u32 v13, vcc_lo, v13, s7
	v_add_co_ci_u32_e64 v218, null, s1, 0, s0
	v_add_co_ci_u32_e32 v14, vcc_lo, s6, v14, vcc_lo
	v_add_co_u32 v21, vcc_lo, 0x800, v217
	v_add_co_ci_u32_e32 v22, vcc_lo, 0, v218, vcc_lo
	global_load_dwordx4 v[17:20], v[13:14], off
	v_add_co_u32 v13, vcc_lo, v13, s7
	v_add_co_ci_u32_e32 v14, vcc_lo, s6, v14, vcc_lo
	global_load_dwordx4 v[70:73], v[21:22], off offset:448
	global_load_dwordx4 v[28:31], v[13:14], off
	v_add_co_u32 v13, vcc_lo, v13, s7
	v_add_co_ci_u32_e32 v14, vcc_lo, s6, v14, vcc_lo
	global_load_dwordx4 v[23:26], v[21:22], off offset:1072
	;; [unrolled: 4-line block ×3, first 2 shown]
	global_load_dwordx4 v[40:43], v[13:14], off
	v_add_co_u32 v13, vcc_lo, v13, s7
	v_add_co_ci_u32_e32 v14, vcc_lo, s6, v14, vcc_lo
	s_mov_b32 s0, 0xebaa3ed8
	s_mov_b32 s1, 0x3fbedb7d
	s_waitcnt vmcnt(12)
	v_mul_f64 v[21:22], v[3:4], v[52:53]
	v_mul_f64 v[44:45], v[1:2], v[52:53]
	s_waitcnt vmcnt(10)
	v_mul_f64 v[46:47], v[7:8], v[56:57]
	v_mul_f64 v[48:49], v[5:6], v[56:57]
	v_fma_f64 v[1:2], v[1:2], v[50:51], v[21:22]
	buffer_store_dword v50, off, s[48:51], 0 offset:40 ; 4-byte Folded Spill
	buffer_store_dword v51, off, s[48:51], 0 offset:44 ; 4-byte Folded Spill
	buffer_store_dword v52, off, s[48:51], 0 offset:48 ; 4-byte Folded Spill
	buffer_store_dword v53, off, s[48:51], 0 offset:52 ; 4-byte Folded Spill
	s_waitcnt vmcnt(8)
	v_mul_f64 v[21:22], v[11:12], v[68:69]
	v_fma_f64 v[5:6], v[5:6], v[54:55], v[46:47]
	buffer_store_dword v54, off, s[48:51], 0 offset:56 ; 4-byte Folded Spill
	buffer_store_dword v55, off, s[48:51], 0 offset:60 ; 4-byte Folded Spill
	;; [unrolled: 1-line block ×4, first 2 shown]
	s_waitcnt vmcnt(6)
	v_mul_f64 v[46:47], v[19:20], v[60:61]
	v_fma_f64 v[3:4], v[3:4], v[50:51], -v[44:45]
	v_mul_f64 v[44:45], v[9:10], v[68:69]
	v_fma_f64 v[9:10], v[9:10], v[66:67], v[21:22]
	buffer_store_dword v66, off, s[48:51], 0 offset:104 ; 4-byte Folded Spill
	buffer_store_dword v67, off, s[48:51], 0 offset:108 ; 4-byte Folded Spill
	buffer_store_dword v68, off, s[48:51], 0 offset:112 ; 4-byte Folded Spill
	buffer_store_dword v69, off, s[48:51], 0 offset:116 ; 4-byte Folded Spill
	s_waitcnt vmcnt(4)
	v_mul_f64 v[21:22], v[30:31], v[72:73]
	v_fma_f64 v[7:8], v[7:8], v[54:55], -v[48:49]
	v_mul_f64 v[48:49], v[17:18], v[60:61]
	v_fma_f64 v[17:18], v[17:18], v[58:59], v[46:47]
	buffer_store_dword v58, off, s[48:51], 0 offset:88 ; 4-byte Folded Spill
	buffer_store_dword v59, off, s[48:51], 0 offset:92 ; 4-byte Folded Spill
	;; [unrolled: 1-line block ×4, first 2 shown]
	s_waitcnt vmcnt(2)
	v_mul_f64 v[46:47], v[34:35], v[25:26]
	v_fma_f64 v[52:53], v[28:29], v[70:71], v[21:22]
	s_waitcnt vmcnt(0)
	v_mul_f64 v[21:22], v[42:43], v[64:65]
	v_fma_f64 v[56:57], v[32:33], v[23:24], v[46:47]
	v_fma_f64 v[60:61], v[40:41], v[62:63], v[21:22]
	v_fma_f64 v[11:12], v[11:12], v[66:67], -v[44:45]
	v_mul_f64 v[44:45], v[28:29], v[72:73]
	buffer_store_dword v70, off, s[48:51], 0 offset:152 ; 4-byte Folded Spill
	buffer_store_dword v71, off, s[48:51], 0 offset:156 ; 4-byte Folded Spill
	;; [unrolled: 1-line block ×4, first 2 shown]
	v_mul_f64 v[28:29], v[40:41], v[64:65]
	v_fma_f64 v[19:20], v[19:20], v[58:59], -v[48:49]
	v_mul_f64 v[48:49], v[32:33], v[25:26]
	buffer_store_dword v23, off, s[48:51], 0 offset:8 ; 4-byte Folded Spill
	buffer_store_dword v24, off, s[48:51], 0 offset:12 ; 4-byte Folded Spill
	;; [unrolled: 1-line block ×8, first 2 shown]
	v_fma_f64 v[54:55], v[30:31], v[70:71], -v[44:45]
	v_add_co_u32 v44, vcc_lo, 0x1000, v217
	v_add_co_ci_u32_e32 v45, vcc_lo, 0, v218, vcc_lo
	v_fma_f64 v[58:59], v[34:35], v[23:24], -v[48:49]
	v_fma_f64 v[62:63], v[42:43], v[62:63], -v[28:29]
	global_load_dwordx4 v[32:35], v[13:14], off
	s_clause 0x1
	global_load_dwordx4 v[23:26], v[44:45], off offset:272
	global_load_dwordx4 v[27:30], v[44:45], off offset:896
	v_add_co_u32 v13, vcc_lo, v13, s7
	v_add_co_ci_u32_e32 v14, vcc_lo, s6, v14, vcc_lo
	s_waitcnt vmcnt(1)
	v_mul_f64 v[21:22], v[34:35], v[25:26]
	v_mul_f64 v[40:41], v[32:33], v[25:26]
	v_fma_f64 v[64:65], v[32:33], v[23:24], v[21:22]
	buffer_store_dword v23, off, s[48:51], 0 offset:72 ; 4-byte Folded Spill
	buffer_store_dword v24, off, s[48:51], 0 offset:76 ; 4-byte Folded Spill
	;; [unrolled: 1-line block ×4, first 2 shown]
	v_fma_f64 v[66:67], v[34:35], v[23:24], -v[40:41]
	global_load_dwordx4 v[32:35], v[13:14], off
	v_add_co_u32 v13, vcc_lo, v13, s7
	v_add_co_ci_u32_e32 v14, vcc_lo, s6, v14, vcc_lo
	s_waitcnt vmcnt(0)
	v_mul_f64 v[21:22], v[34:35], v[29:30]
	v_mul_f64 v[40:41], v[32:33], v[29:30]
	v_fma_f64 v[68:69], v[32:33], v[27:28], v[21:22]
	buffer_store_dword v27, off, s[48:51], 0 offset:120 ; 4-byte Folded Spill
	buffer_store_dword v28, off, s[48:51], 0 offset:124 ; 4-byte Folded Spill
	;; [unrolled: 1-line block ×4, first 2 shown]
	v_fma_f64 v[70:71], v[34:35], v[27:28], -v[40:41]
	global_load_dwordx4 v[23:26], v[44:45], off offset:1520
	global_load_dwordx4 v[40:43], v[13:14], off
	v_add_co_u32 v13, vcc_lo, v13, s7
	v_add_co_ci_u32_e32 v14, vcc_lo, s6, v14, vcc_lo
	v_add_co_u32 v156, vcc_lo, 0x1800, v217
	v_add_co_ci_u32_e32 v157, vcc_lo, 0, v218, vcc_lo
	s_waitcnt vmcnt(0)
	v_mul_f64 v[21:22], v[42:43], v[25:26]
	v_mul_f64 v[44:45], v[40:41], v[25:26]
	v_fma_f64 v[72:73], v[40:41], v[23:24], v[21:22]
	buffer_store_dword v23, off, s[48:51], 0 offset:136 ; 4-byte Folded Spill
	buffer_store_dword v24, off, s[48:51], 0 offset:140 ; 4-byte Folded Spill
	;; [unrolled: 1-line block ×4, first 2 shown]
	v_fma_f64 v[74:75], v[42:43], v[23:24], -v[44:45]
	global_load_dwordx4 v[48:51], v[13:14], off
	s_clause 0x1
	global_load_dwordx4 v[23:26], v[156:157], off offset:96
	global_load_dwordx4 v[44:47], v[156:157], off offset:720
	v_add_co_u32 v13, vcc_lo, v13, s7
	v_add_co_ci_u32_e32 v14, vcc_lo, s6, v14, vcc_lo
	s_waitcnt vmcnt(1)
	v_mul_f64 v[21:22], v[50:51], v[25:26]
	v_mul_f64 v[78:79], v[48:49], v[25:26]
	v_fma_f64 v[76:77], v[48:49], v[23:24], v[21:22]
	buffer_store_dword v23, off, s[48:51], 0 offset:168 ; 4-byte Folded Spill
	buffer_store_dword v24, off, s[48:51], 0 offset:172 ; 4-byte Folded Spill
	buffer_store_dword v25, off, s[48:51], 0 offset:176 ; 4-byte Folded Spill
	buffer_store_dword v26, off, s[48:51], 0 offset:180 ; 4-byte Folded Spill
	v_fma_f64 v[78:79], v[50:51], v[23:24], -v[78:79]
	global_load_dwordx4 v[48:51], v[13:14], off
	v_add_co_u32 v13, vcc_lo, v13, s7
	v_add_co_ci_u32_e32 v14, vcc_lo, s6, v14, vcc_lo
	s_mov_b32 s6, 0xb2365da1
	s_mov_b32 s7, 0xbfd6b1d8
	v_cmp_gt_u16_e32 vcc_lo, 13, v16
	s_waitcnt vmcnt(0)
	v_mul_f64 v[21:22], v[50:51], v[46:47]
	v_mul_f64 v[82:83], v[48:49], v[46:47]
	v_fma_f64 v[80:81], v[48:49], v[44:45], v[21:22]
	v_fma_f64 v[82:83], v[50:51], v[44:45], -v[82:83]
	global_load_dwordx4 v[84:87], v[13:14], off
	global_load_dwordx4 v[48:51], v[156:157], off offset:1344
	s_waitcnt vmcnt(0)
	v_mul_f64 v[13:14], v[86:87], v[50:51]
	v_mul_f64 v[21:22], v[84:85], v[50:51]
	v_fma_f64 v[84:85], v[84:85], v[48:49], v[13:14]
	v_mul_hi_u32 v13, 0xaaaaaaab, v200
	v_fma_f64 v[86:87], v[86:87], v[48:49], -v[21:22]
	v_lshrrev_b32_e32 v13, 1, v13
	v_lshl_add_u32 v13, v13, 1, v13
	v_sub_nc_u32_e32 v13, v200, v13
	v_mul_u32_u24_e32 v13, 0x1fb, v13
	v_lshlrev_b32_e32 v23, 4, v13
	v_add_nc_u32_e32 v255, v0, v23
	ds_write_b128 v255, v[1:4]
	ds_write_b128 v255, v[5:8] offset:624
	ds_write_b128 v255, v[9:12] offset:1248
	;; [unrolled: 1-line block ×9, first 2 shown]
	s_load_dwordx4 s[8:11], s[10:11], 0x0
	ds_write_b128 v255, v[76:79] offset:6240
	ds_write_b128 v255, v[80:83] offset:6864
	;; [unrolled: 1-line block ×3, first 2 shown]
	s_waitcnt lgkmcnt(0)
	s_waitcnt_vscnt null, 0x0
	s_barrier
	buffer_gl0_inv
	ds_read_b128 v[52:55], v255
	ds_read_b128 v[56:59], v255 offset:624
	ds_read_b128 v[60:63], v255 offset:1248
	;; [unrolled: 1-line block ×9, first 2 shown]
	s_waitcnt lgkmcnt(8)
	v_add_f64 v[0:1], v[52:53], v[56:57]
	v_add_f64 v[2:3], v[54:55], v[58:59]
	s_waitcnt lgkmcnt(2)
	v_add_f64 v[6:7], v[76:77], v[80:81]
	s_waitcnt lgkmcnt(1)
	v_add_f64 v[8:9], v[72:73], -v[12:13]
	v_add_f64 v[10:11], v[74:75], -v[14:15]
	s_waitcnt lgkmcnt(0)
	v_add_f64 v[88:89], v[68:69], -v[17:18]
	v_add_f64 v[90:91], v[70:71], -v[19:20]
	v_add_f64 v[0:1], v[0:1], v[60:61]
	v_add_f64 v[2:3], v[2:3], v[62:63]
	;; [unrolled: 1-line block ×10, first 2 shown]
	v_add_f64 v[76:77], v[76:77], -v[80:81]
	v_add_f64 v[0:1], v[78:79], v[82:83]
	v_add_f64 v[78:79], v[78:79], -v[82:83]
	v_add_f64 v[21:22], v[2:3], v[80:81]
	v_add_f64 v[80:81], v[4:5], v[82:83]
	;; [unrolled: 1-line block ×6, first 2 shown]
	v_mul_f64 v[142:143], v[78:79], s[28:29]
	v_add_f64 v[12:13], v[21:22], v[12:13]
	v_add_f64 v[14:15], v[80:81], v[14:15]
	;; [unrolled: 1-line block ×4, first 2 shown]
	ds_read_b128 v[12:15], v255 offset:6240
	ds_read_b128 v[17:20], v255 offset:6864
	buffer_store_dword v23, off, s[48:51], 0 ; 4-byte Folded Spill
	s_waitcnt lgkmcnt(1)
	v_add_f64 v[80:81], v[64:65], v[12:13]
	v_add_f64 v[82:83], v[66:67], v[14:15]
	v_add_f64 v[92:93], v[64:65], -v[12:13]
	v_add_f64 v[94:95], v[66:67], -v[14:15]
	v_add_f64 v[12:13], v[21:22], v[12:13]
	v_add_f64 v[14:15], v[68:69], v[14:15]
	s_waitcnt lgkmcnt(0)
	v_add_f64 v[84:85], v[60:61], v[17:18]
	v_add_f64 v[86:87], v[62:63], v[19:20]
	v_add_f64 v[96:97], v[60:61], -v[17:18]
	v_add_f64 v[98:99], v[62:63], -v[19:20]
	v_add_f64 v[17:18], v[12:13], v[17:18]
	v_add_f64 v[19:20], v[14:15], v[19:20]
	ds_read_b128 v[12:15], v255 offset:7488
	s_waitcnt lgkmcnt(0)
	s_waitcnt_vscnt null, 0x0
	s_barrier
	buffer_gl0_inv
	v_add_f64 v[21:22], v[58:59], -v[14:15]
	v_add_f64 v[60:61], v[56:57], v[12:13]
	v_add_f64 v[62:63], v[58:59], v[14:15]
	v_add_f64 v[64:65], v[56:57], -v[12:13]
	v_add_f64 v[56:57], v[17:18], v[12:13]
	v_add_f64 v[58:59], v[19:20], v[14:15]
	v_mul_f64 v[12:13], v[21:22], s[22:23]
	v_mul_f64 v[14:15], v[21:22], s[26:27]
	;; [unrolled: 1-line block ×10, first 2 shown]
	v_fma_f64 v[68:69], v[60:61], s[14:15], -v[12:13]
	v_fma_f64 v[12:13], v[60:61], s[14:15], v[12:13]
	v_fma_f64 v[70:71], v[60:61], s[12:13], -v[14:15]
	v_fma_f64 v[14:15], v[60:61], s[12:13], v[14:15]
	;; [unrolled: 2-line block ×6, first 2 shown]
	v_mul_f64 v[60:61], v[64:65], s[22:23]
	v_mul_f64 v[64:65], v[64:65], s[28:29]
	v_fma_f64 v[118:119], v[62:63], s[12:13], v[106:107]
	v_fma_f64 v[106:107], v[62:63], s[12:13], -v[106:107]
	v_fma_f64 v[120:121], v[62:63], s[0:1], v[110:111]
	v_fma_f64 v[110:111], v[62:63], s[0:1], -v[110:111]
	;; [unrolled: 2-line block ×4, first 2 shown]
	s_mov_b32 s23, 0x3fddbe06
	v_add_f64 v[70:71], v[52:53], v[70:71]
	v_add_f64 v[128:129], v[52:53], v[14:15]
	;; [unrolled: 1-line block ×9, first 2 shown]
	v_fma_f64 v[116:117], v[62:63], s[14:15], v[60:61]
	v_fma_f64 v[60:61], v[62:63], s[14:15], -v[60:61]
	v_fma_f64 v[126:127], v[62:63], s[24:25], v[64:65]
	v_fma_f64 v[62:63], v[62:63], s[24:25], -v[64:65]
	v_add_f64 v[64:65], v[52:53], v[68:69]
	v_add_f64 v[118:119], v[54:55], v[118:119]
	v_add_f64 v[130:131], v[54:55], v[106:107]
	v_add_f64 v[120:121], v[54:55], v[120:121]
	v_add_f64 v[134:135], v[54:55], v[110:111]
	v_add_f64 v[122:123], v[54:55], v[122:123]
	v_add_f64 v[138:139], v[54:55], v[112:113]
	v_add_f64 v[124:125], v[54:55], v[124:125]
	v_add_f64 v[104:105], v[54:55], v[114:115]
	v_mul_f64 v[21:22], v[98:99], s[26:27]
	v_add_f64 v[106:107], v[52:53], v[66:67]
	v_mul_f64 v[108:109], v[92:93], s[30:31]
	v_mul_f64 v[110:111], v[90:91], s[18:19]
	;; [unrolled: 1-line block ×4, first 2 shown]
	v_add_f64 v[68:69], v[54:55], v[116:117]
	v_add_f64 v[116:117], v[52:53], v[12:13]
	;; [unrolled: 1-line block ×5, first 2 shown]
	v_mul_f64 v[54:55], v[96:97], s[26:27]
	v_mul_f64 v[126:127], v[8:9], s[20:21]
	v_fma_f64 v[52:53], v[84:85], s[12:13], -v[21:22]
	v_fma_f64 v[21:22], v[84:85], s[12:13], v[21:22]
	v_fma_f64 v[62:63], v[86:87], s[12:13], v[54:55]
	v_fma_f64 v[54:55], v[86:87], s[12:13], -v[54:55]
	v_add_f64 v[52:53], v[52:53], v[64:65]
	v_add_f64 v[21:22], v[21:22], v[116:117]
	v_mul_f64 v[116:117], v[10:11], s[34:35]
	v_add_f64 v[62:63], v[62:63], v[68:69]
	v_mul_f64 v[68:69], v[94:95], s[30:31]
	v_add_f64 v[54:55], v[54:55], v[60:61]
	v_fma_f64 v[64:65], v[80:81], s[0:1], -v[68:69]
	v_fma_f64 v[60:61], v[80:81], s[0:1], v[68:69]
	v_add_f64 v[52:53], v[64:65], v[52:53]
	v_fma_f64 v[64:65], v[82:83], s[0:1], v[108:109]
	v_add_f64 v[21:22], v[60:61], v[21:22]
	v_fma_f64 v[60:61], v[82:83], s[0:1], -v[108:109]
	v_mul_f64 v[108:109], v[94:95], s[28:29]
	v_add_f64 v[62:63], v[64:65], v[62:63]
	v_fma_f64 v[64:65], v[72:73], s[6:7], -v[110:111]
	v_add_f64 v[54:55], v[60:61], v[54:55]
	v_fma_f64 v[60:61], v[72:73], s[6:7], v[110:111]
	v_mul_f64 v[110:111], v[92:93], s[28:29]
	v_add_f64 v[52:53], v[64:65], v[52:53]
	v_fma_f64 v[64:65], v[74:75], s[6:7], v[112:113]
	v_add_f64 v[21:22], v[60:61], v[21:22]
	v_fma_f64 v[60:61], v[74:75], s[6:7], -v[112:113]
	v_mul_f64 v[112:113], v[90:91], s[36:37]
	v_add_f64 v[62:63], v[64:65], v[62:63]
	v_fma_f64 v[64:65], v[2:3], s[16:17], -v[114:115]
	v_add_f64 v[54:55], v[60:61], v[54:55]
	v_fma_f64 v[60:61], v[2:3], s[16:17], v[114:115]
	v_mul_f64 v[114:115], v[88:89], s[36:37]
	v_add_f64 v[52:53], v[64:65], v[52:53]
	v_fma_f64 v[64:65], v[4:5], s[16:17], v[126:127]
	v_add_f64 v[21:22], v[60:61], v[21:22]
	v_fma_f64 v[60:61], v[4:5], s[16:17], -v[126:127]
	v_mul_f64 v[126:127], v[78:79], s[22:23]
	v_add_f64 v[62:63], v[64:65], v[62:63]
	v_fma_f64 v[64:65], v[6:7], s[24:25], -v[142:143]
	v_add_f64 v[54:55], v[60:61], v[54:55]
	v_fma_f64 v[60:61], v[6:7], s[24:25], v[142:143]
	v_add_f64 v[64:65], v[64:65], v[52:53]
	v_mul_f64 v[52:53], v[76:77], s[28:29]
	v_add_f64 v[60:61], v[60:61], v[21:22]
	v_mul_f64 v[21:22], v[98:99], s[18:19]
	v_fma_f64 v[66:67], v[0:1], s[24:25], v[52:53]
	v_fma_f64 v[52:53], v[0:1], s[24:25], -v[52:53]
	v_add_f64 v[66:67], v[66:67], v[62:63]
	v_add_f64 v[62:63], v[52:53], v[54:55]
	v_fma_f64 v[52:53], v[84:85], s[6:7], -v[21:22]
	v_mul_f64 v[54:55], v[96:97], s[18:19]
	v_fma_f64 v[21:22], v[84:85], s[6:7], v[21:22]
	v_add_f64 v[52:53], v[52:53], v[70:71]
	v_fma_f64 v[68:69], v[86:87], s[6:7], v[54:55]
	v_fma_f64 v[70:71], v[80:81], s[24:25], -v[108:109]
	v_add_f64 v[21:22], v[21:22], v[128:129]
	v_fma_f64 v[54:55], v[86:87], s[6:7], -v[54:55]
	v_fma_f64 v[108:109], v[80:81], s[24:25], v[108:109]
	v_add_f64 v[68:69], v[68:69], v[118:119]
	v_add_f64 v[52:53], v[70:71], v[52:53]
	v_fma_f64 v[70:71], v[82:83], s[24:25], v[110:111]
	v_add_f64 v[54:55], v[54:55], v[130:131]
	v_add_f64 v[21:22], v[108:109], v[21:22]
	v_fma_f64 v[108:109], v[82:83], s[24:25], -v[110:111]
	v_mul_f64 v[118:119], v[8:9], s[34:35]
	v_add_f64 v[68:69], v[70:71], v[68:69]
	v_fma_f64 v[70:71], v[72:73], s[16:17], -v[112:113]
	v_add_f64 v[54:55], v[108:109], v[54:55]
	v_fma_f64 v[108:109], v[72:73], s[16:17], v[112:113]
	v_mul_f64 v[112:113], v[96:97], s[28:29]
	v_add_f64 v[52:53], v[70:71], v[52:53]
	v_fma_f64 v[70:71], v[74:75], s[16:17], v[114:115]
	v_add_f64 v[21:22], v[108:109], v[21:22]
	v_fma_f64 v[108:109], v[74:75], s[16:17], -v[114:115]
	v_mul_f64 v[114:115], v[94:95], s[38:39]
	v_add_f64 v[68:69], v[70:71], v[68:69]
	v_fma_f64 v[70:71], v[2:3], s[0:1], -v[116:117]
	v_add_f64 v[54:55], v[108:109], v[54:55]
	v_fma_f64 v[108:109], v[2:3], s[0:1], v[116:117]
	v_fma_f64 v[116:117], v[80:81], s[6:7], -v[114:115]
	v_add_f64 v[52:53], v[70:71], v[52:53]
	v_fma_f64 v[70:71], v[4:5], s[0:1], v[118:119]
	v_add_f64 v[21:22], v[108:109], v[21:22]
	v_fma_f64 v[108:109], v[4:5], s[0:1], -v[118:119]
	v_add_f64 v[70:71], v[70:71], v[68:69]
	v_fma_f64 v[68:69], v[6:7], s[14:15], -v[126:127]
	v_add_f64 v[54:55], v[108:109], v[54:55]
	v_fma_f64 v[108:109], v[6:7], s[14:15], v[126:127]
	v_add_f64 v[68:69], v[68:69], v[52:53]
	v_mul_f64 v[52:53], v[76:77], s[22:23]
	v_fma_f64 v[142:143], v[0:1], s[14:15], v[52:53]
	v_fma_f64 v[110:111], v[0:1], s[14:15], -v[52:53]
	v_add_f64 v[52:53], v[108:109], v[21:22]
	v_mul_f64 v[21:22], v[98:99], s[28:29]
	s_mov_b32 s29, 0x3fea55e2
	v_add_f64 v[70:71], v[142:143], v[70:71]
	v_add_f64 v[54:55], v[110:111], v[54:55]
	v_fma_f64 v[110:111], v[86:87], s[24:25], v[112:113]
	v_fma_f64 v[108:109], v[84:85], s[24:25], -v[21:22]
	v_fma_f64 v[21:22], v[84:85], s[24:25], v[21:22]
	v_add_f64 v[110:111], v[110:111], v[120:121]
	v_add_f64 v[108:109], v[108:109], v[132:133]
	;; [unrolled: 1-line block ×3, first 2 shown]
	v_fma_f64 v[21:22], v[86:87], s[24:25], -v[112:113]
	v_fma_f64 v[112:113], v[80:81], s[6:7], v[114:115]
	v_add_f64 v[108:109], v[116:117], v[108:109]
	v_mul_f64 v[116:117], v[92:93], s[38:39]
	v_add_f64 v[21:22], v[21:22], v[134:135]
	v_add_f64 v[17:18], v[112:113], v[17:18]
	v_fma_f64 v[118:119], v[82:83], s[6:7], v[116:117]
	v_fma_f64 v[112:113], v[82:83], s[6:7], -v[116:117]
	v_add_f64 v[110:111], v[118:119], v[110:111]
	v_mul_f64 v[118:119], v[90:91], s[22:23]
	v_add_f64 v[21:22], v[112:113], v[21:22]
	v_fma_f64 v[120:121], v[72:73], s[14:15], -v[118:119]
	v_fma_f64 v[112:113], v[72:73], s[14:15], v[118:119]
	v_add_f64 v[108:109], v[120:121], v[108:109]
	v_mul_f64 v[120:121], v[88:89], s[22:23]
	v_add_f64 v[17:18], v[112:113], v[17:18]
	v_fma_f64 v[126:127], v[74:75], s[14:15], v[120:121]
	v_fma_f64 v[112:113], v[74:75], s[14:15], -v[120:121]
	v_mul_f64 v[120:121], v[96:97], s[36:37]
	v_add_f64 v[110:111], v[126:127], v[110:111]
	v_mul_f64 v[126:127], v[10:11], s[26:27]
	v_add_f64 v[21:22], v[112:113], v[21:22]
	v_fma_f64 v[116:117], v[86:87], s[16:17], v[120:121]
	v_fma_f64 v[128:129], v[2:3], s[12:13], -v[126:127]
	v_fma_f64 v[112:113], v[2:3], s[12:13], v[126:127]
	v_add_f64 v[116:117], v[116:117], v[122:123]
	v_mul_f64 v[122:123], v[94:95], s[22:23]
	v_mul_f64 v[126:127], v[92:93], s[22:23]
	v_add_f64 v[108:109], v[128:129], v[108:109]
	v_mul_f64 v[128:129], v[8:9], s[26:27]
	v_add_f64 v[17:18], v[112:113], v[17:18]
	v_fma_f64 v[118:119], v[80:81], s[14:15], -v[122:123]
	v_fma_f64 v[130:131], v[4:5], s[12:13], v[128:129]
	v_fma_f64 v[112:113], v[4:5], s[12:13], -v[128:129]
	v_mul_f64 v[128:129], v[90:91], s[30:31]
	v_add_f64 v[110:111], v[130:131], v[110:111]
	v_mul_f64 v[130:131], v[78:79], s[20:21]
	v_add_f64 v[21:22], v[112:113], v[21:22]
	v_fma_f64 v[132:133], v[6:7], s[16:17], -v[130:131]
	v_fma_f64 v[112:113], v[6:7], s[16:17], v[130:131]
	v_mul_f64 v[130:131], v[88:89], s[30:31]
	s_mov_b32 s31, 0x3fcea1e5
	s_mov_b32 s30, s28
	;; [unrolled: 1-line block ×3, first 2 shown]
	v_mul_f64 v[134:135], v[8:9], s[30:31]
	v_add_f64 v[108:109], v[132:133], v[108:109]
	v_mul_f64 v[132:133], v[76:77], s[20:21]
	v_add_f64 v[112:113], v[112:113], v[17:18]
	v_mul_f64 v[17:18], v[98:99], s[36:37]
	v_fma_f64 v[114:115], v[0:1], s[16:17], -v[132:133]
	v_fma_f64 v[142:143], v[0:1], s[16:17], v[132:133]
	v_mul_f64 v[132:133], v[10:11], s[30:31]
	v_add_f64 v[114:115], v[114:115], v[21:22]
	v_fma_f64 v[21:22], v[84:85], s[16:17], -v[17:18]
	v_fma_f64 v[17:18], v[84:85], s[16:17], v[17:18]
	v_add_f64 v[110:111], v[142:143], v[110:111]
	v_add_f64 v[21:22], v[21:22], v[136:137]
	;; [unrolled: 1-line block ×3, first 2 shown]
	v_fma_f64 v[19:20], v[86:87], s[16:17], -v[120:121]
	v_fma_f64 v[120:121], v[80:81], s[14:15], v[122:123]
	v_mul_f64 v[136:137], v[78:79], s[28:29]
	v_add_f64 v[21:22], v[118:119], v[21:22]
	v_fma_f64 v[118:119], v[82:83], s[14:15], v[126:127]
	v_add_f64 v[19:20], v[19:20], v[138:139]
	v_add_f64 v[17:18], v[120:121], v[17:18]
	v_fma_f64 v[120:121], v[82:83], s[14:15], -v[126:127]
	v_mul_f64 v[138:139], v[8:9], s[22:23]
	v_add_f64 v[116:117], v[118:119], v[116:117]
	v_fma_f64 v[118:119], v[72:73], s[0:1], -v[128:129]
	v_add_f64 v[19:20], v[120:121], v[19:20]
	v_fma_f64 v[120:121], v[72:73], s[0:1], v[128:129]
	v_mul_f64 v[128:129], v[94:95], s[26:27]
	v_add_f64 v[21:22], v[118:119], v[21:22]
	v_fma_f64 v[118:119], v[74:75], s[0:1], v[130:131]
	v_add_f64 v[17:18], v[120:121], v[17:18]
	v_fma_f64 v[120:121], v[74:75], s[0:1], -v[130:131]
	v_mul_f64 v[130:131], v[92:93], s[26:27]
	v_mul_f64 v[92:93], v[92:93], s[20:21]
	v_add_f64 v[116:117], v[118:119], v[116:117]
	v_fma_f64 v[118:119], v[2:3], s[24:25], -v[132:133]
	v_add_f64 v[19:20], v[120:121], v[19:20]
	v_fma_f64 v[120:121], v[2:3], s[24:25], v[132:133]
	v_mul_f64 v[132:133], v[90:91], s[30:31]
	v_mul_f64 v[90:91], v[90:91], s[28:29]
	v_add_f64 v[21:22], v[118:119], v[21:22]
	v_fma_f64 v[118:119], v[4:5], s[24:25], v[134:135]
	v_add_f64 v[17:18], v[120:121], v[17:18]
	v_fma_f64 v[120:121], v[4:5], s[24:25], -v[134:135]
	v_mul_f64 v[134:135], v[88:89], s[30:31]
	v_mul_f64 v[88:89], v[88:89], s[28:29]
	v_add_f64 v[118:119], v[118:119], v[116:117]
	v_fma_f64 v[116:117], v[6:7], s[12:13], -v[136:137]
	v_add_f64 v[19:20], v[120:121], v[19:20]
	v_fma_f64 v[120:121], v[6:7], s[12:13], v[136:137]
	v_mul_f64 v[136:137], v[10:11], s[22:23]
	v_add_f64 v[116:117], v[116:117], v[21:22]
	v_mul_f64 v[21:22], v[76:77], s[28:29]
	v_add_f64 v[120:121], v[120:121], v[17:18]
	v_mul_f64 v[17:18], v[98:99], s[34:35]
	v_fma_f64 v[142:143], v[0:1], s[12:13], v[21:22]
	v_fma_f64 v[21:22], v[0:1], s[12:13], -v[21:22]
	v_add_f64 v[118:119], v[142:143], v[118:119]
	v_add_f64 v[122:123], v[21:22], v[19:20]
	v_mul_f64 v[21:22], v[96:97], s[34:35]
	v_fma_f64 v[19:20], v[84:85], s[0:1], -v[17:18]
	v_fma_f64 v[17:18], v[84:85], s[0:1], v[17:18]
	v_fma_f64 v[126:127], v[86:87], s[0:1], v[21:22]
	v_add_f64 v[19:20], v[19:20], v[140:141]
	v_fma_f64 v[21:22], v[86:87], s[0:1], -v[21:22]
	v_add_f64 v[17:18], v[17:18], v[106:107]
	v_mul_f64 v[140:141], v[78:79], s[18:19]
	v_mul_f64 v[78:79], v[78:79], s[34:35]
	v_add_f64 v[124:125], v[126:127], v[124:125]
	v_fma_f64 v[126:127], v[80:81], s[12:13], -v[128:129]
	v_add_f64 v[21:22], v[21:22], v[104:105]
	v_fma_f64 v[104:105], v[80:81], s[12:13], v[128:129]
	v_add_f64 v[19:20], v[126:127], v[19:20]
	v_fma_f64 v[126:127], v[82:83], s[12:13], v[130:131]
	v_add_f64 v[17:18], v[104:105], v[17:18]
	v_fma_f64 v[104:105], v[82:83], s[12:13], -v[130:131]
	v_add_f64 v[124:125], v[126:127], v[124:125]
	v_fma_f64 v[126:127], v[72:73], s[24:25], -v[132:133]
	v_add_f64 v[21:22], v[104:105], v[21:22]
	v_fma_f64 v[104:105], v[72:73], s[24:25], v[132:133]
	v_add_f64 v[19:20], v[126:127], v[19:20]
	v_fma_f64 v[126:127], v[74:75], s[24:25], v[134:135]
	v_add_f64 v[17:18], v[104:105], v[17:18]
	v_fma_f64 v[104:105], v[74:75], s[24:25], -v[134:135]
	;; [unrolled: 8-line block ×3, first 2 shown]
	v_add_f64 v[126:127], v[126:127], v[124:125]
	v_fma_f64 v[124:125], v[6:7], s[6:7], -v[140:141]
	v_add_f64 v[21:22], v[104:105], v[21:22]
	v_fma_f64 v[104:105], v[6:7], s[6:7], v[140:141]
	v_add_f64 v[124:125], v[124:125], v[19:20]
	v_mul_f64 v[19:20], v[76:77], s[18:19]
	v_add_f64 v[104:105], v[104:105], v[17:18]
	v_mul_f64 v[17:18], v[98:99], s[22:23]
	v_mul_f64 v[76:77], v[76:77], s[34:35]
	v_fma_f64 v[142:143], v[0:1], s[6:7], v[19:20]
	v_fma_f64 v[19:20], v[0:1], s[6:7], -v[19:20]
	v_add_f64 v[126:127], v[142:143], v[126:127]
	v_add_f64 v[106:107], v[19:20], v[21:22]
	v_fma_f64 v[19:20], v[84:85], s[14:15], -v[17:18]
	v_add_f64 v[14:15], v[19:20], v[14:15]
	v_mul_f64 v[19:20], v[96:97], s[22:23]
	v_fma_f64 v[21:22], v[86:87], s[14:15], v[19:20]
	v_add_f64 v[12:13], v[21:22], v[12:13]
	v_mul_f64 v[21:22], v[94:95], s[20:21]
	v_fma_f64 v[94:95], v[80:81], s[16:17], -v[21:22]
	v_add_f64 v[14:15], v[94:95], v[14:15]
	v_fma_f64 v[94:95], v[82:83], s[16:17], v[92:93]
	v_add_f64 v[12:13], v[94:95], v[12:13]
	v_fma_f64 v[94:95], v[72:73], s[12:13], -v[90:91]
	v_fma_f64 v[72:73], v[72:73], s[12:13], v[90:91]
	v_add_f64 v[14:15], v[94:95], v[14:15]
	v_fma_f64 v[94:95], v[74:75], s[12:13], v[88:89]
	v_fma_f64 v[74:75], v[74:75], s[12:13], -v[88:89]
	v_add_f64 v[12:13], v[94:95], v[12:13]
	v_mul_f64 v[94:95], v[10:11], s[18:19]
	v_fma_f64 v[10:11], v[2:3], s[6:7], -v[94:95]
	v_fma_f64 v[2:3], v[2:3], s[6:7], v[94:95]
	v_add_f64 v[10:11], v[10:11], v[14:15]
	v_mul_f64 v[14:15], v[8:9], s[18:19]
	v_fma_f64 v[8:9], v[4:5], s[6:7], v[14:15]
	v_fma_f64 v[4:5], v[4:5], s[6:7], -v[14:15]
	v_add_f64 v[12:13], v[8:9], v[12:13]
	v_fma_f64 v[8:9], v[6:7], s[0:1], -v[78:79]
	v_fma_f64 v[6:7], v[6:7], s[0:1], v[78:79]
	v_add_f64 v[8:9], v[8:9], v[10:11]
	v_fma_f64 v[10:11], v[0:1], s[0:1], v[76:77]
	v_add_f64 v[10:11], v[10:11], v[12:13]
	v_fma_f64 v[12:13], v[84:85], s[14:15], v[17:18]
	v_fma_f64 v[17:18], v[86:87], s[14:15], -v[19:20]
	v_fma_f64 v[19:20], v[80:81], s[16:17], v[21:22]
	v_fma_f64 v[21:22], v[82:83], s[16:17], -v[92:93]
	v_add_f64 v[12:13], v[12:13], v[100:101]
	v_add_f64 v[17:18], v[17:18], v[102:103]
	;; [unrolled: 1-line block ×6, first 2 shown]
	v_fma_f64 v[17:18], v[0:1], s[0:1], -v[76:77]
	v_add_f64 v[0:1], v[2:3], v[12:13]
	v_add_f64 v[2:3], v[4:5], v[14:15]
	v_mul_lo_u16 v4, v16, 13
	v_and_b32_e32 v4, 0xffff, v4
	v_lshl_add_u32 v20, v4, 4, v23
	v_add_f64 v[0:1], v[6:7], v[0:1]
	v_add_f64 v[2:3], v[17:18], v[2:3]
	ds_write_b128 v20, v[64:67] offset:16
	ds_write_b128 v20, v[68:71] offset:32
	;; [unrolled: 1-line block ×12, first 2 shown]
	ds_write_b128 v20, v[56:59]
	s_waitcnt lgkmcnt(0)
	s_barrier
	buffer_gl0_inv
	ds_read_b128 v[72:75], v255
	ds_read_b128 v[64:67], v255 offset:624
	ds_read_b128 v[136:139], v255 offset:2704
	;; [unrolled: 1-line block ×11, first 2 shown]
	s_and_saveexec_b32 s0, vcc_lo
	s_cbranch_execz .LBB0_3
; %bb.2:
	ds_read_b128 v[60:63], v255 offset:2496
	ds_read_b128 v[144:147], v255 offset:5200
	;; [unrolled: 1-line block ×3, first 2 shown]
.LBB0_3:
	s_or_b32 exec_lo, exec_lo, s0
	v_add_nc_u16 v1, v36, 39
	v_add_nc_u16 v3, v36, 0x9c
	v_and_b32_e32 v0, 0xff, v36
	v_add_nc_u16 v4, v36, 0x4e
	v_add_nc_u16 v6, v36, 0x75
	v_and_b32_e32 v5, 0xff, v1
	v_and_b32_e32 v7, 0xff, v3
	v_mul_lo_u16 v0, 0x4f, v0
	v_and_b32_e32 v8, 0xff, v4
	v_and_b32_e32 v9, 0xff, v6
	v_mul_lo_u16 v5, 0x4f, v5
	v_mul_lo_u16 v7, 0x4f, v7
	v_lshrrev_b16 v0, 10, v0
	v_mul_lo_u16 v8, 0x4f, v8
	v_mov_b32_e32 v2, 5
	v_lshrrev_b16 v11, 10, v5
	v_mul_lo_u16 v5, 0x4f, v9
	v_lshrrev_b16 v7, 10, v7
	v_mul_lo_u16 v10, v0, 13
	;; [unrolled: 2-line block ×4, first 2 shown]
	v_sub_nc_u16 v8, v36, v10
	v_mul_lo_u16 v7, v23, 13
	v_sub_nc_u16 v25, v1, v9
	v_mul_lo_u16 v1, v24, 13
	v_sub_nc_u16 v26, v3, v5
	v_lshlrev_b32_sdwa v10, v2, v8 dst_sel:DWORD dst_unused:UNUSED_PAD src0_sel:DWORD src1_sel:BYTE_0
	v_sub_nc_u16 v27, v4, v7
	v_lshlrev_b32_sdwa v3, v2, v25 dst_sel:DWORD dst_unused:UNUSED_PAD src0_sel:DWORD src1_sel:BYTE_0
	v_sub_nc_u16 v28, v6, v1
	v_lshlrev_b16 v4, 1, v26
	s_clause 0x1
	global_load_dwordx4 v[88:91], v10, s[2:3]
	global_load_dwordx4 v[84:87], v10, s[2:3] offset:16
	v_lshlrev_b32_sdwa v1, v2, v27 dst_sel:DWORD dst_unused:UNUSED_PAD src0_sel:DWORD src1_sel:BYTE_0
	s_clause 0x1
	global_load_dwordx4 v[104:107], v3, s[2:3]
	global_load_dwordx4 v[100:103], v3, s[2:3] offset:16
	v_and_b32_e32 v3, 0xfe, v4
	v_lshlrev_b32_sdwa v2, v2, v28 dst_sel:DWORD dst_unused:UNUSED_PAD src0_sel:DWORD src1_sel:BYTE_0
	s_clause 0x1
	global_load_dwordx4 v[112:115], v1, s[2:3]
	global_load_dwordx4 v[108:111], v1, s[2:3] offset:16
	v_mov_b32_e32 v29, 39
	v_lshlrev_b32_e32 v1, 4, v3
	s_clause 0x3
	global_load_dwordx4 v[96:99], v2, s[2:3]
	global_load_dwordx4 v[92:95], v2, s[2:3] offset:16
	global_load_dwordx4 v[56:59], v1, s[2:3]
	global_load_dwordx4 v[52:55], v1, s[2:3] offset:16
	buffer_load_dword v32, off, s[48:51], 0 ; 4-byte Folded Reload
	v_mul_u32_u24_sdwa v9, v0, v29 dst_sel:DWORD dst_unused:UNUSED_PAD src0_sel:WORD_0 src1_sel:DWORD
	v_mul_u32_u24_sdwa v30, v11, v29 dst_sel:DWORD dst_unused:UNUSED_PAD src0_sel:WORD_0 src1_sel:DWORD
	s_mov_b32 s0, 0xe8584caa
	s_mov_b32 s1, 0x3febb67a
	;; [unrolled: 1-line block ×3, first 2 shown]
	v_add_nc_u32_sdwa v31, v9, v8 dst_sel:DWORD dst_unused:UNUSED_PAD src0_sel:DWORD src1_sel:BYTE_0
	s_mov_b32 s6, s0
	s_waitcnt vmcnt(0) lgkmcnt(0)
	s_barrier
	buffer_gl0_inv
	v_mul_f64 v[0:1], v[138:139], v[90:91]
	v_mul_f64 v[2:3], v[136:137], v[90:91]
	;; [unrolled: 1-line block ×20, first 2 shown]
	v_lshl_add_u32 v31, v31, 4, v32
	v_fma_f64 v[136:137], v[136:137], v[88:89], -v[0:1]
	v_fma_f64 v[138:139], v[138:139], v[88:89], v[2:3]
	v_fma_f64 v[140:141], v[140:141], v[84:85], -v[4:5]
	v_fma_f64 v[142:143], v[142:143], v[84:85], v[6:7]
	v_fma_f64 v[8:9], v[80:81], v[104:105], -v[8:9]
	v_fma_f64 v[80:81], v[120:121], v[100:101], -v[10:11]
	v_fma_f64 v[10:11], v[82:83], v[104:105], v[12:13]
	v_fma_f64 v[14:15], v[122:123], v[100:101], v[14:15]
	v_fma_f64 v[12:13], v[128:129], v[112:113], -v[16:17]
	v_fma_f64 v[16:17], v[132:133], v[108:109], -v[18:19]
	v_fma_f64 v[18:19], v[130:131], v[112:113], v[21:22]
	v_fma_f64 v[21:22], v[134:135], v[108:109], v[152:153]
	v_fma_f64 v[82:83], v[116:117], v[96:97], -v[154:155]
	v_fma_f64 v[116:117], v[124:125], v[92:93], -v[158:159]
	v_fma_f64 v[118:119], v[118:119], v[96:97], v[160:161]
	v_fma_f64 v[120:121], v[126:127], v[92:93], v[162:163]
	v_fma_f64 v[2:3], v[144:145], v[56:57], -v[164:165]
	v_fma_f64 v[0:1], v[148:149], v[52:53], -v[166:167]
	v_fma_f64 v[6:7], v[146:147], v[56:57], v[168:169]
	v_fma_f64 v[4:5], v[150:151], v[52:53], v[170:171]
	buffer_store_dword v31, off, s[48:51], 0 offset:184 ; 4-byte Folded Spill
	v_add_f64 v[122:123], v[72:73], v[136:137]
	v_add_f64 v[128:129], v[74:75], v[138:139]
	;; [unrolled: 1-line block ×3, first 2 shown]
	v_add_f64 v[126:127], v[138:139], -v[142:143]
	v_add_f64 v[130:131], v[138:139], v[142:143]
	v_add_f64 v[134:135], v[8:9], v[80:81]
	;; [unrolled: 1-line block ×4, first 2 shown]
	v_add_f64 v[144:145], v[10:11], -v[14:15]
	v_add_f64 v[146:147], v[12:13], v[16:17]
	v_add_f64 v[132:133], v[136:137], -v[140:141]
	v_add_f64 v[10:11], v[18:19], v[21:22]
	v_add_f64 v[136:137], v[64:65], v[8:9]
	v_add_f64 v[152:153], v[82:83], v[116:117]
	v_add_f64 v[150:151], v[8:9], -v[80:81]
	v_add_f64 v[158:159], v[118:119], v[120:121]
	v_add_f64 v[154:155], v[76:77], v[12:13]
	;; [unrolled: 4-line block ×3, first 2 shown]
	v_add_f64 v[166:167], v[12:13], -v[16:17]
	v_add_f64 v[168:169], v[68:69], v[82:83]
	v_add_f64 v[170:171], v[70:71], v[118:119]
	v_fma_f64 v[72:73], v[124:125], -0.5, v[72:73]
	v_add_f64 v[118:119], v[118:119], -v[120:121]
	v_fma_f64 v[74:75], v[130:131], -0.5, v[74:75]
	v_add_f64 v[172:173], v[82:83], -v[116:117]
	v_fma_f64 v[82:83], v[134:135], -0.5, v[64:65]
	v_add_f64 v[174:175], v[6:7], -v[4:5]
	v_fma_f64 v[124:125], v[138:139], -0.5, v[66:67]
	v_add_f64 v[176:177], v[2:3], -v[0:1]
	v_fma_f64 v[130:131], v[146:147], -0.5, v[76:77]
	v_add_f64 v[8:9], v[122:123], v[140:141]
	v_fma_f64 v[122:123], v[10:11], -0.5, v[78:79]
	v_add_f64 v[10:11], v[128:129], v[142:143]
	v_fma_f64 v[134:135], v[152:153], -0.5, v[68:69]
	v_fma_f64 v[138:139], v[158:159], -0.5, v[70:71]
	v_add_f64 v[12:13], v[136:137], v[80:81]
	v_fma_f64 v[140:141], v[162:163], -0.5, v[60:61]
	v_add_f64 v[14:15], v[148:149], v[14:15]
	;; [unrolled: 2-line block ×3, first 2 shown]
	v_add_f64 v[18:19], v[18:19], v[21:22]
	v_add_f64 v[64:65], v[168:169], v[116:117]
	;; [unrolled: 1-line block ×3, first 2 shown]
	v_fma_f64 v[68:69], v[126:127], s[0:1], v[72:73]
	v_fma_f64 v[72:73], v[126:127], s[6:7], v[72:73]
	v_fma_f64 v[70:71], v[132:133], s[6:7], v[74:75]
	v_fma_f64 v[74:75], v[132:133], s[0:1], v[74:75]
	v_fma_f64 v[76:77], v[144:145], s[0:1], v[82:83]
	v_fma_f64 v[80:81], v[144:145], s[6:7], v[82:83]
	v_fma_f64 v[78:79], v[150:151], s[6:7], v[124:125]
	v_fma_f64 v[82:83], v[150:151], s[0:1], v[124:125]
	v_fma_f64 v[124:125], v[160:161], s[0:1], v[130:131]
	v_fma_f64 v[128:129], v[160:161], s[6:7], v[130:131]
	v_fma_f64 v[126:127], v[166:167], s[6:7], v[122:123]
	v_fma_f64 v[130:131], v[166:167], s[0:1], v[122:123]
	v_fma_f64 v[132:133], v[118:119], s[0:1], v[134:135]
	v_fma_f64 v[136:137], v[118:119], s[6:7], v[134:135]
	v_fma_f64 v[134:135], v[172:173], s[6:7], v[138:139]
	v_fma_f64 v[138:139], v[172:173], s[0:1], v[138:139]
	v_fma_f64 v[116:117], v[174:175], s[0:1], v[140:141]
	v_fma_f64 v[120:121], v[174:175], s[6:7], v[140:141]
	v_fma_f64 v[118:119], v[176:177], s[6:7], v[142:143]
	v_fma_f64 v[122:123], v[176:177], s[0:1], v[142:143]
	v_mul_u32_u24_sdwa v21, v23, v29 dst_sel:DWORD dst_unused:UNUSED_PAD src0_sel:WORD_0 src1_sel:DWORD
	ds_write_b128 v31, v[8:11]
	v_mul_u32_u24_sdwa v8, v24, v29 dst_sel:DWORD dst_unused:UNUSED_PAD src0_sel:WORD_0 src1_sel:DWORD
	v_add_nc_u32_sdwa v22, v30, v25 dst_sel:DWORD dst_unused:UNUSED_PAD src0_sel:DWORD src1_sel:BYTE_0
	ds_write_b128 v31, v[68:71] offset:208
	v_add_nc_u32_sdwa v9, v21, v27 dst_sel:DWORD dst_unused:UNUSED_PAD src0_sel:DWORD src1_sel:BYTE_0
	ds_write_b128 v31, v[72:75] offset:416
	v_add_nc_u32_sdwa v8, v8, v28 dst_sel:DWORD dst_unused:UNUSED_PAD src0_sel:DWORD src1_sel:BYTE_0
	v_lshl_add_u32 v21, v22, 4, v32
	ds_write_b128 v21, v[12:15]
	ds_write_b128 v21, v[76:79] offset:208
	ds_write_b128 v21, v[80:83] offset:416
	v_lshl_add_u32 v10, v9, 4, v32
	v_lshl_add_u32 v9, v8, 4, v32
	v_and_b32_e32 v8, 0xff, v26
	ds_write_b128 v10, v[16:19]
	ds_write_b128 v10, v[124:127] offset:208
	buffer_store_dword v8, off, s[48:51], 0 offset:188 ; 4-byte Folded Spill
	buffer_store_dword v10, off, s[48:51], 0 offset:196 ; 4-byte Folded Spill
	ds_write_b128 v10, v[128:131] offset:416
	ds_write_b128 v9, v[64:67]
	ds_write_b128 v9, v[132:135] offset:208
	buffer_store_dword v9, off, s[48:51], 0 offset:192 ; 4-byte Folded Spill
	ds_write_b128 v9, v[136:139] offset:416
	s_and_saveexec_b32 s0, vcc_lo
	s_cbranch_execz .LBB0_5
; %bb.4:
	v_add_f64 v[6:7], v[62:63], v[6:7]
	v_add_f64 v[8:9], v[60:61], v[2:3]
	;; [unrolled: 1-line block ×3, first 2 shown]
	s_clause 0x1
	buffer_load_dword v4, off, s[48:51], 0
	buffer_load_dword v5, off, s[48:51], 0 offset:188
	v_add_f64 v[0:1], v[8:9], v[0:1]
	s_waitcnt vmcnt(0)
	v_lshl_add_u32 v4, v5, 4, v4
	ds_write_b128 v4, v[116:119] offset:7696
	ds_write_b128 v4, v[0:3] offset:7488
	;; [unrolled: 1-line block ×3, first 2 shown]
.LBB0_5:
	s_or_b32 exec_lo, exec_lo, s0
	v_mad_u64_u32 v[0:1], null, 0xc0, v36, s[2:3]
	buffer_store_dword v36, off, s[48:51], 0 offset:4 ; 4-byte Folded Spill
	s_waitcnt lgkmcnt(0)
	s_waitcnt_vscnt null, 0x0
	s_barrier
	buffer_gl0_inv
	s_mov_b32 s30, 0x4267c47c
	s_mov_b32 s18, 0x42a4c3d2
	s_clause 0x5
	global_load_dwordx4 v[80:83], v[0:1], off offset:416
	global_load_dwordx4 v[72:75], v[0:1], off offset:432
	;; [unrolled: 1-line block ×6, first 2 shown]
	ds_read_b128 v[2:5], v255 offset:624
	ds_read_b128 v[6:9], v255 offset:1248
	;; [unrolled: 1-line block ×3, first 2 shown]
	ds_read_b128 v[14:17], v255
	ds_read_b128 v[128:131], v255 offset:2496
	ds_read_b128 v[132:135], v255 offset:3120
	global_load_dwordx4 v[124:127], v[0:1], off offset:512
	s_mov_b32 s20, 0x66966769
	s_mov_b32 s14, 0x2ef20147
	;; [unrolled: 1-line block ×31, first 2 shown]
	s_waitcnt vmcnt(6) lgkmcnt(5)
	v_mul_f64 v[18:19], v[4:5], v[82:83]
	v_mul_f64 v[136:137], v[2:3], v[82:83]
	s_waitcnt vmcnt(5) lgkmcnt(4)
	v_mul_f64 v[138:139], v[8:9], v[74:75]
	v_mul_f64 v[140:141], v[6:7], v[74:75]
	s_waitcnt vmcnt(4) lgkmcnt(3)
	v_mul_f64 v[142:143], v[12:13], v[66:67]
	s_waitcnt vmcnt(3) lgkmcnt(1)
	v_mul_f64 v[146:147], v[130:131], v[62:63]
	v_mul_f64 v[144:145], v[10:11], v[66:67]
	s_waitcnt vmcnt(2) lgkmcnt(0)
	v_mul_f64 v[150:151], v[134:135], v[70:71]
	v_fma_f64 v[18:19], v[2:3], v[80:81], -v[18:19]
	v_fma_f64 v[148:149], v[4:5], v[80:81], v[136:137]
	ds_read_b128 v[2:5], v255 offset:3744
	v_mul_f64 v[136:137], v[128:129], v[62:63]
	v_fma_f64 v[158:159], v[6:7], v[72:73], -v[138:139]
	v_fma_f64 v[160:161], v[8:9], v[72:73], v[140:141]
	ds_read_b128 v[6:9], v255 offset:4368
	v_fma_f64 v[162:163], v[10:11], v[64:65], -v[142:143]
	v_fma_f64 v[166:167], v[128:129], v[60:61], -v[146:147]
	v_fma_f64 v[164:165], v[12:13], v[64:65], v[144:145]
	v_mul_f64 v[138:139], v[132:133], v[70:71]
	v_fma_f64 v[170:171], v[132:133], v[68:69], -v[150:151]
	s_waitcnt vmcnt(1) lgkmcnt(1)
	v_mul_f64 v[10:11], v[4:5], v[78:79]
	v_mul_f64 v[12:13], v[2:3], v[78:79]
	v_fma_f64 v[168:169], v[130:131], v[60:61], v[136:137]
	global_load_dwordx4 v[128:131], v[0:1], off offset:528
	v_fma_f64 v[172:173], v[134:135], v[68:69], v[138:139]
	v_fma_f64 v[174:175], v[2:3], v[76:77], -v[10:11]
	s_waitcnt vmcnt(1) lgkmcnt(0)
	v_mul_f64 v[2:3], v[8:9], v[126:127]
	v_fma_f64 v[176:177], v[4:5], v[76:77], v[12:13]
	v_fma_f64 v[178:179], v[6:7], v[124:125], -v[2:3]
	v_mul_f64 v[2:3], v[6:7], v[126:127]
	v_add_f64 v[34:35], v[174:175], v[178:179]
	v_fma_f64 v[180:181], v[8:9], v[124:125], v[2:3]
	ds_read_b128 v[2:5], v255 offset:4992
	ds_read_b128 v[6:9], v255 offset:5616
	s_clause 0x1
	global_load_dwordx4 v[132:135], v[0:1], off offset:544
	global_load_dwordx4 v[136:139], v[0:1], off offset:560
	v_add_f64 v[32:33], v[176:177], -v[180:181]
	v_mul_f64 v[36:37], v[32:33], s[2:3]
	v_fma_f64 v[38:39], v[34:35], s[12:13], -v[36:37]
	s_waitcnt vmcnt(2) lgkmcnt(1)
	v_mul_f64 v[10:11], v[4:5], v[130:131]
	v_fma_f64 v[182:183], v[2:3], v[128:129], -v[10:11]
	v_mul_f64 v[2:3], v[2:3], v[130:131]
	v_add_f64 v[28:29], v[170:171], -v[182:183]
	v_fma_f64 v[184:185], v[4:5], v[128:129], v[2:3]
	s_waitcnt vmcnt(1) lgkmcnt(0)
	v_mul_f64 v[2:3], v[8:9], v[134:135]
	v_mul_f64 v[30:31], v[28:29], s[6:7]
	v_add_f64 v[22:23], v[172:173], -v[184:185]
	v_fma_f64 v[186:187], v[6:7], v[132:133], -v[2:3]
	v_mul_f64 v[2:3], v[6:7], v[134:135]
	v_mul_f64 v[24:25], v[22:23], s[6:7]
	v_add_f64 v[251:252], v[166:167], v[186:187]
	v_fma_f64 v[188:189], v[8:9], v[132:133], v[2:3]
	ds_read_b128 v[2:5], v255 offset:6240
	ds_read_b128 v[6:9], v255 offset:6864
	s_clause 0x1
	global_load_dwordx4 v[140:143], v[0:1], off offset:576
	global_load_dwordx4 v[144:147], v[0:1], off offset:592
	s_waitcnt vmcnt(2) lgkmcnt(1)
	v_mul_f64 v[10:11], v[4:5], v[138:139]
	v_fma_f64 v[190:191], v[2:3], v[136:137], -v[10:11]
	v_mul_f64 v[2:3], v[2:3], v[138:139]
	v_add_f64 v[245:246], v[162:163], -v[190:191]
	v_fma_f64 v[192:193], v[4:5], v[136:137], v[2:3]
	s_waitcnt vmcnt(1) lgkmcnt(0)
	v_mul_f64 v[0:1], v[8:9], v[142:143]
	v_fma_f64 v[194:195], v[6:7], v[140:141], -v[0:1]
	v_mul_f64 v[0:1], v[6:7], v[142:143]
	v_fma_f64 v[196:197], v[8:9], v[140:141], v[0:1]
	ds_read_b128 v[0:3], v255 offset:7488
	s_waitcnt vmcnt(0) lgkmcnt(0)
	v_mul_f64 v[4:5], v[2:3], v[146:147]
	v_fma_f64 v[198:199], v[0:1], v[144:145], -v[4:5]
	v_mul_f64 v[0:1], v[0:1], v[146:147]
	v_add_f64 v[12:13], v[18:19], v[198:199]
	v_fma_f64 v[201:202], v[2:3], v[144:145], v[0:1]
	v_add_f64 v[0:1], v[148:149], -v[201:202]
	v_add_f64 v[221:222], v[148:149], v[201:202]
	v_mul_f64 v[2:3], v[0:1], s[30:31]
	v_mul_f64 v[4:5], v[0:1], s[18:19]
	;; [unrolled: 1-line block ×6, first 2 shown]
	v_fma_f64 v[150:151], v[12:13], s[28:29], -v[2:3]
	v_fma_f64 v[2:3], v[12:13], s[28:29], v[2:3]
	v_fma_f64 v[203:204], v[12:13], s[24:25], -v[4:5]
	v_fma_f64 v[4:5], v[12:13], s[24:25], v[4:5]
	;; [unrolled: 2-line block ×6, first 2 shown]
	v_add_f64 v[12:13], v[18:19], -v[198:199]
	v_add_f64 v[18:19], v[14:15], v[18:19]
	buffer_store_dword v18, off, s[48:51], 0 offset:200 ; 4-byte Folded Spill
	buffer_store_dword v19, off, s[48:51], 0 offset:204 ; 4-byte Folded Spill
	v_mul_f64 v[219:220], v[12:13], s[6:7]
	v_mul_f64 v[205:206], v[12:13], s[20:21]
	v_add_f64 v[18:19], v[16:17], v[148:149]
	v_mul_f64 v[152:153], v[12:13], s[30:31]
	v_mul_f64 v[154:155], v[12:13], s[18:19]
	;; [unrolled: 1-line block ×4, first 2 shown]
	buffer_store_dword v18, off, s[48:51], 0 offset:208 ; 4-byte Folded Spill
	buffer_store_dword v19, off, s[48:51], 0 offset:212 ; 4-byte Folded Spill
	v_fma_f64 v[237:238], v[221:222], s[16:17], v[219:220]
	v_fma_f64 v[219:220], v[221:222], s[16:17], -v[219:220]
	v_fma_f64 v[231:232], v[221:222], s[26:27], v[205:206]
	v_fma_f64 v[233:234], v[221:222], s[26:27], -v[205:206]
	v_add_f64 v[205:206], v[14:15], v[4:5]
	v_fma_f64 v[243:244], v[221:222], s[12:13], v[12:13]
	v_fma_f64 v[223:224], v[221:222], s[28:29], v[152:153]
	v_fma_f64 v[152:153], v[221:222], s[28:29], -v[152:153]
	v_fma_f64 v[227:228], v[221:222], s[24:25], v[154:155]
	v_fma_f64 v[229:230], v[221:222], s[24:25], -v[154:155]
	;; [unrolled: 2-line block ×3, first 2 shown]
	v_fma_f64 v[12:13], v[221:222], s[12:13], -v[12:13]
	v_add_f64 v[221:222], v[158:159], -v[194:195]
	v_add_f64 v[0:1], v[14:15], v[0:1]
	v_add_f64 v[249:250], v[14:15], v[6:7]
	;; [unrolled: 1-line block ×8, first 2 shown]
	v_add_f64 v[207:208], v[168:169], -v[188:189]
	v_add_f64 v[4:5], v[16:17], v[219:220]
	buffer_store_dword v4, off, s[48:51], 0 offset:248 ; 4-byte Folded Spill
	buffer_store_dword v5, off, s[48:51], 0 offset:252 ; 4-byte Folded Spill
	v_add_f64 v[4:5], v[14:15], v[213:214]
	buffer_store_dword v4, off, s[48:51], 0 offset:240 ; 4-byte Folded Spill
	buffer_store_dword v5, off, s[48:51], 0 offset:244 ; 4-byte Folded Spill
	v_add_f64 v[4:5], v[16:17], v[243:244]
	v_add_f64 v[219:220], v[160:161], -v[196:197]
	v_add_f64 v[213:214], v[160:161], v[196:197]
	v_mul_f64 v[6:7], v[221:222], s[18:19]
	buffer_store_dword v4, off, s[48:51], 0 offset:232 ; 4-byte Folded Spill
	buffer_store_dword v5, off, s[48:51], 0 offset:236 ; 4-byte Folded Spill
	buffer_store_dword v0, off, s[48:51], 0 offset:216 ; 4-byte Folded Spill
	buffer_store_dword v1, off, s[48:51], 0 offset:220 ; 4-byte Folded Spill
	v_add_f64 v[0:1], v[16:17], v[12:13]
	v_add_f64 v[148:149], v[16:17], v[223:224]
	;; [unrolled: 1-line block ×7, first 2 shown]
	v_mul_f64 v[4:5], v[219:220], s[18:19]
	v_fma_f64 v[8:9], v[213:214], s[24:25], v[6:7]
	v_add_f64 v[243:244], v[164:165], -v[192:193]
	buffer_store_dword v0, off, s[48:51], 0 offset:224 ; 4-byte Folded Spill
	buffer_store_dword v1, off, s[48:51], 0 offset:228 ; 4-byte Folded Spill
	v_add_f64 v[239:240], v[16:17], v[235:236]
	v_add_f64 v[235:236], v[162:163], v[190:191]
	;; [unrolled: 1-line block ×6, first 2 shown]
	v_fma_f64 v[0:1], v[211:212], s[24:25], -v[4:5]
	v_add_f64 v[12:13], v[8:9], v[148:149]
	v_mul_f64 v[8:9], v[243:244], s[20:21]
	v_add_f64 v[253:254], v[16:17], v[231:232]
	v_add_f64 v[231:232], v[16:17], v[215:216]
	v_add_f64 v[215:216], v[166:167], -v[186:187]
	v_fma_f64 v[4:5], v[211:212], s[24:25], v[4:5]
	v_fma_f64 v[6:7], v[213:214], s[24:25], -v[6:7]
	v_add_f64 v[0:1], v[0:1], v[18:19]
	v_fma_f64 v[10:11], v[235:236], s[26:27], -v[8:9]
	v_fma_f64 v[8:9], v[235:236], s[26:27], v[8:9]
	v_add_f64 v[4:5], v[4:5], v[154:155]
	v_add_f64 v[6:7], v[6:7], v[152:153]
	;; [unrolled: 1-line block ×3, first 2 shown]
	v_mul_f64 v[10:11], v[245:246], s[20:21]
	v_add_f64 v[4:5], v[8:9], v[4:5]
	v_fma_f64 v[14:15], v[237:238], s[26:27], v[10:11]
	v_fma_f64 v[8:9], v[237:238], s[26:27], -v[10:11]
	v_add_f64 v[16:17], v[14:15], v[12:13]
	v_mul_f64 v[12:13], v[207:208], s[14:15]
	v_add_f64 v[6:7], v[8:9], v[6:7]
	v_fma_f64 v[14:15], v[251:252], s[22:23], -v[12:13]
	v_fma_f64 v[8:9], v[251:252], s[22:23], v[12:13]
	v_mul_f64 v[12:13], v[243:244], s[2:3]
	v_add_f64 v[18:19], v[14:15], v[0:1]
	v_add_f64 v[0:1], v[168:169], v[188:189]
	v_mul_f64 v[14:15], v[215:216], s[14:15]
	v_add_f64 v[4:5], v[8:9], v[4:5]
	v_fma_f64 v[148:149], v[0:1], s[22:23], v[14:15]
	v_fma_f64 v[8:9], v[0:1], s[22:23], -v[14:15]
	v_fma_f64 v[14:15], v[235:236], s[12:13], -v[12:13]
	v_fma_f64 v[12:13], v[235:236], s[12:13], v[12:13]
	v_add_f64 v[148:149], v[148:149], v[16:17]
	v_add_f64 v[16:17], v[170:171], v[182:183]
	;; [unrolled: 1-line block ×3, first 2 shown]
	v_fma_f64 v[26:27], v[16:17], s[16:17], -v[24:25]
	v_fma_f64 v[8:9], v[16:17], s[16:17], v[24:25]
	v_add_f64 v[26:27], v[26:27], v[18:19]
	v_add_f64 v[18:19], v[172:173], v[184:185]
	;; [unrolled: 1-line block ×3, first 2 shown]
	v_fma_f64 v[150:151], v[18:19], s[16:17], v[30:31]
	v_fma_f64 v[8:9], v[18:19], s[16:17], -v[30:31]
	v_add_f64 v[150:151], v[150:151], v[148:149]
	v_add_f64 v[148:149], v[38:39], v[26:27]
	v_add_f64 v[26:27], v[174:175], -v[178:179]
	v_add_f64 v[6:7], v[8:9], v[6:7]
	v_fma_f64 v[8:9], v[34:35], s[12:13], v[36:37]
	v_add_f64 v[38:39], v[176:177], v[180:181]
	v_mul_f64 v[40:41], v[26:27], s[2:3]
	v_add_f64 v[152:153], v[8:9], v[4:5]
	v_mul_f64 v[8:9], v[219:220], s[14:15]
	v_fma_f64 v[10:11], v[38:39], s[12:13], -v[40:41]
	v_fma_f64 v[42:43], v[38:39], s[12:13], v[40:41]
	v_fma_f64 v[4:5], v[211:212], s[22:23], -v[8:9]
	v_fma_f64 v[8:9], v[211:212], s[22:23], v[8:9]
	v_add_f64 v[154:155], v[10:11], v[6:7]
	v_mul_f64 v[10:11], v[221:222], s[14:15]
	v_add_f64 v[150:151], v[42:43], v[150:151]
	v_add_f64 v[4:5], v[4:5], v[225:226]
	;; [unrolled: 1-line block ×3, first 2 shown]
	v_mul_f64 v[205:206], v[22:23], s[18:19]
	v_fma_f64 v[6:7], v[213:214], s[22:23], v[10:11]
	v_fma_f64 v[10:11], v[213:214], s[22:23], -v[10:11]
	v_add_f64 v[4:5], v[14:15], v[4:5]
	v_mul_f64 v[14:15], v[245:246], s[2:3]
	v_add_f64 v[8:9], v[12:13], v[8:9]
	v_add_f64 v[6:7], v[6:7], v[223:224]
	;; [unrolled: 1-line block ×3, first 2 shown]
	v_mul_f64 v[203:204], v[215:216], s[36:37]
	v_fma_f64 v[24:25], v[237:238], s[12:13], v[14:15]
	v_fma_f64 v[12:13], v[237:238], s[12:13], -v[14:15]
	v_add_f64 v[6:7], v[24:25], v[6:7]
	v_mul_f64 v[24:25], v[207:208], s[38:39]
	v_add_f64 v[10:11], v[12:13], v[10:11]
	v_fma_f64 v[30:31], v[251:252], s[16:17], -v[24:25]
	v_fma_f64 v[12:13], v[251:252], s[16:17], v[24:25]
	v_mul_f64 v[24:25], v[219:220], s[2:3]
	v_add_f64 v[4:5], v[30:31], v[4:5]
	v_mul_f64 v[30:31], v[215:216], s[38:39]
	v_add_f64 v[8:9], v[12:13], v[8:9]
	v_fma_f64 v[36:37], v[0:1], s[16:17], v[30:31]
	v_fma_f64 v[12:13], v[0:1], s[16:17], -v[30:31]
	v_mul_f64 v[30:31], v[221:222], s[2:3]
	v_add_f64 v[6:7], v[36:37], v[6:7]
	v_mul_f64 v[36:37], v[22:23], s[34:35]
	v_add_f64 v[10:11], v[12:13], v[10:11]
	v_fma_f64 v[40:41], v[16:17], s[26:27], -v[36:37]
	v_fma_f64 v[12:13], v[16:17], s[26:27], v[36:37]
	v_mul_f64 v[36:37], v[243:244], s[40:41]
	v_add_f64 v[4:5], v[40:41], v[4:5]
	v_mul_f64 v[40:41], v[28:29], s[34:35]
	v_add_f64 v[8:9], v[12:13], v[8:9]
	v_fma_f64 v[42:43], v[18:19], s[26:27], v[40:41]
	v_fma_f64 v[12:13], v[18:19], s[26:27], -v[40:41]
	v_mul_f64 v[40:41], v[245:246], s[40:41]
	v_add_f64 v[6:7], v[42:43], v[6:7]
	v_mul_f64 v[42:43], v[32:33], s[36:37]
	v_add_f64 v[10:11], v[12:13], v[10:11]
	v_fma_f64 v[223:224], v[34:35], s[28:29], -v[42:43]
	v_fma_f64 v[12:13], v[34:35], s[28:29], v[42:43]
	v_mul_f64 v[42:43], v[207:208], s[36:37]
	v_add_f64 v[4:5], v[223:224], v[4:5]
	v_mul_f64 v[223:224], v[26:27], s[36:37]
	v_add_f64 v[8:9], v[12:13], v[8:9]
	v_fma_f64 v[12:13], v[211:212], s[12:13], -v[24:25]
	v_fma_f64 v[24:25], v[211:212], s[12:13], v[24:25]
	v_fma_f64 v[14:15], v[38:39], s[28:29], -v[223:224]
	v_fma_f64 v[225:226], v[38:39], s[28:29], v[223:224]
	v_add_f64 v[2:3], v[12:13], v[2:3]
	v_fma_f64 v[12:13], v[213:214], s[12:13], v[30:31]
	v_add_f64 v[24:25], v[24:25], v[249:250]
	v_fma_f64 v[30:31], v[213:214], s[12:13], -v[30:31]
	v_mul_f64 v[223:224], v[28:29], s[18:19]
	v_mul_f64 v[249:250], v[28:29], s[44:45]
	v_add_f64 v[10:11], v[14:15], v[10:11]
	v_fma_f64 v[14:15], v[235:236], s[22:23], -v[36:37]
	v_fma_f64 v[36:37], v[235:236], s[22:23], v[36:37]
	v_add_f64 v[12:13], v[12:13], v[253:254]
	v_add_f64 v[6:7], v[225:226], v[6:7]
	;; [unrolled: 1-line block ×3, first 2 shown]
	v_mul_f64 v[225:226], v[32:33], s[6:7]
	v_mul_f64 v[247:248], v[22:23], s[44:45]
	v_add_f64 v[2:3], v[14:15], v[2:3]
	v_fma_f64 v[14:15], v[237:238], s[22:23], v[40:41]
	v_add_f64 v[24:25], v[36:37], v[24:25]
	v_fma_f64 v[36:37], v[237:238], s[22:23], -v[40:41]
	v_mul_f64 v[40:41], v[243:244], s[36:37]
	v_add_f64 v[12:13], v[14:15], v[12:13]
	v_fma_f64 v[14:15], v[251:252], s[28:29], -v[42:43]
	v_add_f64 v[30:31], v[36:37], v[30:31]
	v_fma_f64 v[36:37], v[251:252], s[28:29], v[42:43]
	v_fma_f64 v[42:43], v[235:236], s[28:29], -v[40:41]
	v_add_f64 v[2:3], v[14:15], v[2:3]
	v_fma_f64 v[14:15], v[0:1], s[28:29], v[203:204]
	v_add_f64 v[24:25], v[36:37], v[24:25]
	v_fma_f64 v[36:37], v[0:1], s[28:29], -v[203:204]
	v_add_f64 v[12:13], v[14:15], v[12:13]
	v_fma_f64 v[14:15], v[16:17], s[24:25], -v[205:206]
	v_add_f64 v[30:31], v[36:37], v[30:31]
	v_fma_f64 v[36:37], v[16:17], s[24:25], v[205:206]
	v_add_f64 v[2:3], v[14:15], v[2:3]
	v_fma_f64 v[14:15], v[18:19], s[24:25], v[223:224]
	v_add_f64 v[24:25], v[36:37], v[24:25]
	v_fma_f64 v[36:37], v[18:19], s[24:25], -v[223:224]
	v_add_f64 v[14:15], v[14:15], v[12:13]
	v_fma_f64 v[12:13], v[34:35], s[16:17], -v[225:226]
	v_add_f64 v[30:31], v[36:37], v[30:31]
	v_fma_f64 v[36:37], v[34:35], s[16:17], v[225:226]
	v_add_f64 v[12:13], v[12:13], v[2:3]
	v_mul_f64 v[2:3], v[26:27], s[6:7]
	v_add_f64 v[203:204], v[36:37], v[24:25]
	v_fma_f64 v[253:254], v[38:39], s[16:17], v[2:3]
	v_fma_f64 v[2:3], v[38:39], s[16:17], -v[2:3]
	v_add_f64 v[14:15], v[253:254], v[14:15]
	v_add_f64 v[205:206], v[2:3], v[30:31]
	v_mul_f64 v[2:3], v[219:220], s[38:39]
	v_mul_f64 v[30:31], v[221:222], s[38:39]
	v_mul_f64 v[253:254], v[32:33], s[42:43]
	v_fma_f64 v[24:25], v[211:212], s[16:17], -v[2:3]
	v_fma_f64 v[36:37], v[213:214], s[16:17], v[30:31]
	v_fma_f64 v[2:3], v[211:212], s[16:17], v[2:3]
	v_fma_f64 v[30:31], v[213:214], s[16:17], -v[30:31]
	v_add_f64 v[24:25], v[24:25], v[241:242]
	v_add_f64 v[36:37], v[36:37], v[239:240]
	v_mul_f64 v[239:240], v[207:208], s[20:21]
	v_mul_f64 v[241:242], v[215:216], s[20:21]
	v_add_f64 v[2:3], v[2:3], v[233:234]
	v_add_f64 v[30:31], v[30:31], v[231:232]
	;; [unrolled: 1-line block ×3, first 2 shown]
	v_mul_f64 v[42:43], v[245:246], s[36:37]
	v_fma_f64 v[223:224], v[237:238], s[28:29], v[42:43]
	v_add_f64 v[36:37], v[223:224], v[36:37]
	v_fma_f64 v[223:224], v[251:252], s[26:27], -v[239:240]
	v_add_f64 v[24:25], v[223:224], v[24:25]
	v_fma_f64 v[223:224], v[0:1], s[26:27], v[241:242]
	v_add_f64 v[36:37], v[223:224], v[36:37]
	v_fma_f64 v[223:224], v[16:17], s[12:13], -v[247:248]
	v_add_f64 v[24:25], v[223:224], v[24:25]
	;; [unrolled: 4-line block ×3, first 2 shown]
	v_mul_f64 v[24:25], v[26:27], s[42:43]
	v_fma_f64 v[225:226], v[38:39], s[24:25], v[24:25]
	v_fma_f64 v[24:25], v[38:39], s[24:25], -v[24:25]
	v_add_f64 v[225:226], v[225:226], v[36:37]
	v_fma_f64 v[36:37], v[235:236], s[28:29], v[40:41]
	v_mul_f64 v[40:41], v[243:244], s[18:19]
	v_add_f64 v[2:3], v[36:37], v[2:3]
	v_fma_f64 v[36:37], v[237:238], s[28:29], -v[42:43]
	v_fma_f64 v[42:43], v[235:236], s[24:25], -v[40:41]
	v_add_f64 v[30:31], v[36:37], v[30:31]
	v_fma_f64 v[36:37], v[251:252], s[26:27], v[239:240]
	v_mul_f64 v[239:240], v[207:208], s[44:45]
	v_add_f64 v[2:3], v[36:37], v[2:3]
	v_fma_f64 v[36:37], v[0:1], s[26:27], -v[241:242]
	v_mul_f64 v[241:242], v[215:216], s[44:45]
	v_mul_f64 v[215:216], v[215:216], s[42:43]
	v_add_f64 v[30:31], v[36:37], v[30:31]
	v_fma_f64 v[36:37], v[16:17], s[12:13], v[247:248]
	v_mul_f64 v[247:248], v[22:23], s[36:37]
	v_mul_f64 v[22:23], v[22:23], s[14:15]
	v_add_f64 v[2:3], v[36:37], v[2:3]
	v_fma_f64 v[36:37], v[18:19], s[12:13], -v[249:250]
	v_mul_f64 v[249:250], v[28:29], s[36:37]
	v_mul_f64 v[28:29], v[28:29], s[14:15]
	v_add_f64 v[30:31], v[36:37], v[30:31]
	v_fma_f64 v[36:37], v[34:35], s[24:25], v[253:254]
	v_mul_f64 v[253:254], v[32:33], s[14:15]
	v_mul_f64 v[32:33], v[32:33], s[34:35]
	v_add_f64 v[233:234], v[24:25], v[30:31]
	v_add_f64 v[231:232], v[36:37], v[2:3]
	v_mul_f64 v[2:3], v[219:220], s[34:35]
	v_mul_f64 v[30:31], v[221:222], s[34:35]
	v_fma_f64 v[24:25], v[211:212], s[26:27], -v[2:3]
	v_fma_f64 v[36:37], v[213:214], s[26:27], v[30:31]
	v_fma_f64 v[2:3], v[211:212], s[26:27], v[2:3]
	v_fma_f64 v[30:31], v[213:214], s[26:27], -v[30:31]
	v_add_f64 v[24:25], v[24:25], v[229:230]
	v_add_f64 v[36:37], v[36:37], v[227:228]
	;; [unrolled: 1-line block ×4, first 2 shown]
	v_mul_f64 v[42:43], v[245:246], s[18:19]
	v_fma_f64 v[227:228], v[237:238], s[24:25], v[42:43]
	v_add_f64 v[36:37], v[227:228], v[36:37]
	v_fma_f64 v[227:228], v[251:252], s[12:13], -v[239:240]
	v_add_f64 v[24:25], v[227:228], v[24:25]
	v_fma_f64 v[227:228], v[0:1], s[12:13], v[241:242]
	v_add_f64 v[36:37], v[227:228], v[36:37]
	v_fma_f64 v[227:228], v[16:17], s[28:29], -v[247:248]
	v_add_f64 v[24:25], v[227:228], v[24:25]
	;; [unrolled: 4-line block ×3, first 2 shown]
	v_mul_f64 v[24:25], v[26:27], s[14:15]
	v_mul_f64 v[26:27], v[26:27], s[34:35]
	v_fma_f64 v[229:230], v[38:39], s[22:23], v[24:25]
	v_fma_f64 v[24:25], v[38:39], s[22:23], -v[24:25]
	v_add_f64 v[229:230], v[229:230], v[36:37]
	s_clause 0x1
	buffer_load_dword v36, off, s[48:51], 0 offset:248
	buffer_load_dword v37, off, s[48:51], 0 offset:252
	s_waitcnt vmcnt(0)
	v_add_f64 v[30:31], v[30:31], v[36:37]
	v_fma_f64 v[36:37], v[235:236], s[24:25], v[40:41]
	v_add_f64 v[2:3], v[36:37], v[2:3]
	v_fma_f64 v[36:37], v[237:238], s[24:25], -v[42:43]
	v_add_f64 v[30:31], v[36:37], v[30:31]
	v_fma_f64 v[36:37], v[251:252], s[12:13], v[239:240]
	v_add_f64 v[2:3], v[36:37], v[2:3]
	v_fma_f64 v[36:37], v[0:1], s[12:13], -v[241:242]
	;; [unrolled: 4-line block ×3, first 2 shown]
	v_add_f64 v[30:31], v[36:37], v[30:31]
	v_fma_f64 v[36:37], v[34:35], s[22:23], v[253:254]
	v_add_f64 v[241:242], v[24:25], v[30:31]
	s_clause 0x3
	buffer_load_dword v30, off, s[48:51], 0 offset:240
	buffer_load_dword v31, off, s[48:51], 0 offset:244
	buffer_load_dword v40, off, s[48:51], 0 offset:232
	buffer_load_dword v41, off, s[48:51], 0 offset:236
	v_add_f64 v[239:240], v[36:37], v[2:3]
	v_mul_f64 v[2:3], v[219:220], s[36:37]
	v_mul_f64 v[219:220], v[207:208], s[42:43]
	v_fma_f64 v[24:25], v[211:212], s[28:29], -v[2:3]
	v_fma_f64 v[207:208], v[251:252], s[24:25], -v[219:220]
	v_fma_f64 v[2:3], v[211:212], s[28:29], v[2:3]
	s_waitcnt vmcnt(2)
	v_add_f64 v[24:25], v[24:25], v[30:31]
	v_mul_f64 v[30:31], v[221:222], s[36:37]
	v_fma_f64 v[36:37], v[213:214], s[28:29], v[30:31]
	s_waitcnt vmcnt(0)
	v_add_f64 v[36:37], v[36:37], v[40:41]
	v_mul_f64 v[40:41], v[243:244], s[6:7]
	v_fma_f64 v[42:43], v[235:236], s[16:17], -v[40:41]
	v_add_f64 v[24:25], v[42:43], v[24:25]
	v_mul_f64 v[42:43], v[245:246], s[6:7]
	v_add_f64 v[24:25], v[207:208], v[24:25]
	v_fma_f64 v[209:210], v[237:238], s[16:17], v[42:43]
	v_fma_f64 v[207:208], v[0:1], s[24:25], v[215:216]
	v_fma_f64 v[0:1], v[0:1], s[24:25], -v[215:216]
	v_add_f64 v[36:37], v[209:210], v[36:37]
	v_add_f64 v[36:37], v[207:208], v[36:37]
	v_fma_f64 v[207:208], v[16:17], s[22:23], -v[22:23]
	v_fma_f64 v[16:17], v[16:17], s[22:23], v[22:23]
	v_fma_f64 v[22:23], v[34:35], s[26:27], v[32:33]
	v_add_f64 v[24:25], v[207:208], v[24:25]
	v_fma_f64 v[207:208], v[18:19], s[22:23], v[28:29]
	v_fma_f64 v[18:19], v[18:19], s[22:23], -v[28:29]
	v_add_f64 v[36:37], v[207:208], v[36:37]
	v_fma_f64 v[207:208], v[34:35], s[26:27], -v[32:33]
	v_add_f64 v[207:208], v[207:208], v[24:25]
	v_fma_f64 v[24:25], v[38:39], s[26:27], v[26:27]
	v_add_f64 v[209:210], v[24:25], v[36:37]
	v_fma_f64 v[24:25], v[213:214], s[28:29], -v[30:31]
	v_fma_f64 v[30:31], v[235:236], s[16:17], v[40:41]
	s_clause 0x1
	buffer_load_dword v40, off, s[48:51], 0 offset:216
	buffer_load_dword v41, off, s[48:51], 0 offset:220
	v_fma_f64 v[36:37], v[237:238], s[16:17], -v[42:43]
	s_waitcnt vmcnt(0)
	v_add_f64 v[2:3], v[2:3], v[40:41]
	s_clause 0x1
	buffer_load_dword v40, off, s[48:51], 0 offset:224
	buffer_load_dword v41, off, s[48:51], 0 offset:228
	v_add_f64 v[2:3], v[30:31], v[2:3]
	s_waitcnt vmcnt(0)
	v_add_f64 v[24:25], v[24:25], v[40:41]
	v_fma_f64 v[40:41], v[251:252], s[24:25], v[219:220]
	v_add_f64 v[24:25], v[36:37], v[24:25]
	v_add_f64 v[2:3], v[40:41], v[2:3]
	;; [unrolled: 1-line block ×3, first 2 shown]
	v_fma_f64 v[24:25], v[38:39], s[26:27], -v[26:27]
	v_add_f64 v[2:3], v[16:17], v[2:3]
	v_add_f64 v[16:17], v[18:19], v[0:1]
	v_add_f64 v[0:1], v[22:23], v[2:3]
	v_add_f64 v[2:3], v[24:25], v[16:17]
	s_clause 0x3
	buffer_load_dword v16, off, s[48:51], 0 offset:200
	buffer_load_dword v17, off, s[48:51], 0 offset:204
	;; [unrolled: 1-line block ×4, first 2 shown]
	s_waitcnt vmcnt(2)
	v_add_f64 v[16:17], v[16:17], v[158:159]
	s_waitcnt vmcnt(0)
	v_add_f64 v[18:19], v[18:19], v[160:161]
	v_add_f64 v[16:17], v[16:17], v[162:163]
	;; [unrolled: 1-line block ×21, first 2 shown]
	ds_write_b128 v255, v[148:151] offset:624
	ds_write_b128 v255, v[4:7] offset:1248
	;; [unrolled: 1-line block ×12, first 2 shown]
	ds_write_b128 v255, v[16:19]
	s_waitcnt lgkmcnt(0)
	s_waitcnt_vscnt null, 0x0
	s_barrier
	buffer_gl0_inv
	global_load_dwordx4 v[0:3], v[156:157], off offset:1968
	v_add_co_u32 v16, s0, 0x1fb0, v217
	v_add_co_ci_u32_e64 v17, s0, 0, v218, s0
	global_load_dwordx4 v[4:7], v[16:17], off offset:624
	ds_read_b128 v[8:11], v255
	ds_read_b128 v[12:15], v255 offset:624
	s_waitcnt vmcnt(1) lgkmcnt(1)
	v_mul_f64 v[18:19], v[10:11], v[2:3]
	v_mul_f64 v[2:3], v[8:9], v[2:3]
	v_fma_f64 v[148:149], v[8:9], v[0:1], -v[18:19]
	v_fma_f64 v[150:151], v[10:11], v[0:1], v[2:3]
	s_waitcnt vmcnt(0) lgkmcnt(0)
	v_mul_f64 v[0:1], v[14:15], v[6:7]
	v_mul_f64 v[2:3], v[12:13], v[6:7]
	v_fma_f64 v[152:153], v[12:13], v[4:5], -v[0:1]
	v_fma_f64 v[154:155], v[14:15], v[4:5], v[2:3]
	s_clause 0x1
	global_load_dwordx4 v[0:3], v[16:17], off offset:1248
	global_load_dwordx4 v[4:7], v[16:17], off offset:1872
	ds_read_b128 v[8:11], v255 offset:1248
	ds_read_b128 v[12:15], v255 offset:1872
	s_waitcnt vmcnt(1) lgkmcnt(1)
	v_mul_f64 v[16:17], v[10:11], v[2:3]
	v_mul_f64 v[2:3], v[8:9], v[2:3]
	v_fma_f64 v[156:157], v[8:9], v[0:1], -v[16:17]
	v_fma_f64 v[158:159], v[10:11], v[0:1], v[2:3]
	s_waitcnt vmcnt(0) lgkmcnt(0)
	v_mul_f64 v[0:1], v[14:15], v[6:7]
	v_mul_f64 v[2:3], v[12:13], v[6:7]
	v_add_co_u32 v16, s0, 0x2800, v217
	v_add_co_ci_u32_e64 v17, s0, 0, v218, s0
	v_add_co_u32 v22, s0, 0x3000, v217
	v_add_co_ci_u32_e64 v23, s0, 0, v218, s0
	v_fma_f64 v[160:161], v[12:13], v[4:5], -v[0:1]
	v_fma_f64 v[162:163], v[14:15], v[4:5], v[2:3]
	s_clause 0x1
	global_load_dwordx4 v[0:3], v[16:17], off offset:368
	global_load_dwordx4 v[4:7], v[16:17], off offset:992
	ds_read_b128 v[8:11], v255 offset:2496
	ds_read_b128 v[12:15], v255 offset:3120
	s_waitcnt vmcnt(1) lgkmcnt(1)
	v_mul_f64 v[18:19], v[10:11], v[2:3]
	v_mul_f64 v[2:3], v[8:9], v[2:3]
	v_fma_f64 v[8:9], v[8:9], v[0:1], -v[18:19]
	v_fma_f64 v[10:11], v[10:11], v[0:1], v[2:3]
	s_waitcnt vmcnt(0) lgkmcnt(0)
	v_mul_f64 v[0:1], v[14:15], v[6:7]
	v_mul_f64 v[2:3], v[12:13], v[6:7]
	v_fma_f64 v[0:1], v[12:13], v[4:5], -v[0:1]
	v_fma_f64 v[2:3], v[14:15], v[4:5], v[2:3]
	s_clause 0x1
	global_load_dwordx4 v[4:7], v[16:17], off offset:1616
	global_load_dwordx4 v[12:15], v[22:23], off offset:192
	ds_read_b128 v[16:19], v255 offset:3744
	ds_read_b128 v[164:167], v255 offset:4368
	s_waitcnt vmcnt(1) lgkmcnt(1)
	v_mul_f64 v[24:25], v[18:19], v[6:7]
	v_mul_f64 v[6:7], v[16:17], v[6:7]
	v_fma_f64 v[16:17], v[16:17], v[4:5], -v[24:25]
	v_fma_f64 v[18:19], v[18:19], v[4:5], v[6:7]
	s_waitcnt vmcnt(0) lgkmcnt(0)
	v_mul_f64 v[4:5], v[166:167], v[14:15]
	v_mul_f64 v[6:7], v[164:165], v[14:15]
	;; [unrolled: 15-line block ×3, first 2 shown]
	v_add_co_u32 v22, s0, 0x3800, v217
	v_add_co_ci_u32_e64 v23, s0, 0, v218, s0
	v_fma_f64 v[12:13], v[172:173], v[164:165], -v[12:13]
	v_fma_f64 v[14:15], v[174:175], v[164:165], v[14:15]
	s_clause 0x1
	global_load_dwordx4 v[164:167], v[22:23], off offset:16
	global_load_dwordx4 v[172:175], v[22:23], off offset:640
	ds_read_b128 v[176:179], v255 offset:6240
	ds_read_b128 v[180:183], v255 offset:6864
	s_waitcnt vmcnt(1) lgkmcnt(1)
	v_mul_f64 v[24:25], v[178:179], v[166:167]
	v_mul_f64 v[26:27], v[176:177], v[166:167]
	v_fma_f64 v[176:177], v[176:177], v[164:165], -v[24:25]
	v_fma_f64 v[178:179], v[178:179], v[164:165], v[26:27]
	s_waitcnt vmcnt(0) lgkmcnt(0)
	v_mul_f64 v[24:25], v[182:183], v[174:175]
	v_mul_f64 v[26:27], v[180:181], v[174:175]
	v_fma_f64 v[164:165], v[180:181], v[172:173], -v[24:25]
	v_fma_f64 v[166:167], v[182:183], v[172:173], v[26:27]
	global_load_dwordx4 v[172:175], v[22:23], off offset:1264
	ds_read_b128 v[180:183], v255 offset:7488
	s_waitcnt vmcnt(0) lgkmcnt(0)
	v_mul_f64 v[22:23], v[182:183], v[174:175]
	v_mul_f64 v[24:25], v[180:181], v[174:175]
	v_fma_f64 v[180:181], v[180:181], v[172:173], -v[22:23]
	v_fma_f64 v[182:183], v[182:183], v[172:173], v[24:25]
	ds_write_b128 v255, v[148:151]
	ds_write_b128 v255, v[152:155] offset:624
	ds_write_b128 v255, v[156:159] offset:1248
	;; [unrolled: 1-line block ×12, first 2 shown]
	s_waitcnt lgkmcnt(0)
	s_barrier
	buffer_gl0_inv
	ds_read_b128 v[148:151], v255
	ds_read_b128 v[152:155], v255 offset:624
	ds_read_b128 v[156:159], v255 offset:1248
	;; [unrolled: 1-line block ×7, first 2 shown]
	s_waitcnt lgkmcnt(6)
	v_add_f64 v[0:1], v[148:149], v[152:153]
	v_add_f64 v[2:3], v[150:151], v[154:155]
	s_waitcnt lgkmcnt(0)
	v_add_f64 v[192:193], v[174:175], v[178:179]
	v_add_f64 v[8:9], v[174:175], -v[178:179]
	v_add_f64 v[0:1], v[0:1], v[156:157]
	v_add_f64 v[2:3], v[2:3], v[158:159]
	v_mul_f64 v[211:212], v[192:193], s[12:13]
	v_mul_f64 v[209:210], v[8:9], s[2:3]
	;; [unrolled: 1-line block ×3, first 2 shown]
	v_add_f64 v[0:1], v[0:1], v[160:161]
	v_add_f64 v[2:3], v[2:3], v[162:163]
	;; [unrolled: 1-line block ×9, first 2 shown]
	v_add_f64 v[2:3], v[172:173], -v[176:177]
	v_add_f64 v[16:17], v[4:5], v[176:177]
	v_add_f64 v[18:19], v[6:7], v[178:179]
	ds_read_b128 v[4:7], v255 offset:4992
	ds_read_b128 v[12:15], v255 offset:5616
	s_waitcnt lgkmcnt(1)
	v_add_f64 v[172:173], v[168:169], v[4:5]
	v_add_f64 v[10:11], v[170:171], v[6:7]
	v_add_f64 v[168:169], v[168:169], -v[4:5]
	v_add_f64 v[194:195], v[170:171], -v[6:7]
	v_add_f64 v[4:5], v[16:17], v[4:5]
	v_add_f64 v[6:7], v[18:19], v[6:7]
	s_waitcnt lgkmcnt(0)
	v_add_f64 v[170:171], v[164:165], v[12:13]
	v_add_f64 v[196:197], v[166:167], v[14:15]
	v_add_f64 v[164:165], v[164:165], -v[12:13]
	v_add_f64 v[198:199], v[166:167], -v[14:15]
	v_mul_f64 v[190:191], v[10:11], s[16:17]
	v_mul_f64 v[235:236], v[10:11], s[26:27]
	v_add_f64 v[16:17], v[4:5], v[12:13]
	v_add_f64 v[18:19], v[6:7], v[14:15]
	ds_read_b128 v[4:7], v255 offset:6240
	ds_read_b128 v[12:15], v255 offset:6864
	s_waitcnt lgkmcnt(1)
	v_add_f64 v[166:167], v[160:161], v[4:5]
	v_add_f64 v[16:17], v[16:17], v[4:5]
	;; [unrolled: 1-line block ×4, first 2 shown]
	v_add_f64 v[174:175], v[160:161], -v[4:5]
	v_add_f64 v[203:204], v[162:163], -v[6:7]
	s_waitcnt lgkmcnt(0)
	v_add_f64 v[4:5], v[156:157], v[12:13]
	v_add_f64 v[205:206], v[158:159], v[14:15]
	v_add_f64 v[6:7], v[156:157], -v[12:13]
	v_add_f64 v[207:208], v[158:159], -v[14:15]
	v_add_f64 v[16:17], v[16:17], v[12:13]
	v_add_f64 v[18:19], v[18:19], v[14:15]
	ds_read_b128 v[12:15], v255 offset:7488
	s_waitcnt lgkmcnt(0)
	s_barrier
	buffer_gl0_inv
	v_add_f64 v[22:23], v[154:155], -v[14:15]
	v_add_f64 v[24:25], v[152:153], v[12:13]
	v_add_f64 v[26:27], v[154:155], v[14:15]
	v_add_f64 v[28:29], v[152:153], -v[12:13]
	v_add_f64 v[152:153], v[16:17], v[12:13]
	v_add_f64 v[154:155], v[18:19], v[14:15]
	v_mul_f64 v[12:13], v[22:23], s[30:31]
	v_mul_f64 v[14:15], v[22:23], s[18:19]
	;; [unrolled: 1-line block ×10, first 2 shown]
	v_fma_f64 v[32:33], v[24:25], s[28:29], v[12:13]
	v_fma_f64 v[12:13], v[24:25], s[28:29], -v[12:13]
	v_fma_f64 v[34:35], v[24:25], s[24:25], v[14:15]
	v_fma_f64 v[14:15], v[24:25], s[24:25], -v[14:15]
	;; [unrolled: 2-line block ×6, first 2 shown]
	v_mul_f64 v[24:25], v[26:27], s[28:29]
	v_mul_f64 v[26:27], v[26:27], s[12:13]
	v_fma_f64 v[180:181], v[28:29], s[42:43], v[156:157]
	v_fma_f64 v[156:157], v[28:29], s[18:19], v[156:157]
	;; [unrolled: 1-line block ×8, first 2 shown]
	v_add_f64 v[217:218], v[148:149], v[14:15]
	v_add_f64 v[36:37], v[148:149], v[36:37]
	;; [unrolled: 1-line block ×9, first 2 shown]
	v_fma_f64 v[176:177], v[28:29], s[36:37], v[24:25]
	v_fma_f64 v[24:25], v[28:29], s[30:31], v[24:25]
	;; [unrolled: 1-line block ×4, first 2 shown]
	v_add_f64 v[28:29], v[148:149], v[32:33]
	v_add_f64 v[219:220], v[150:151], v[156:157]
	;; [unrolled: 1-line block ×8, first 2 shown]
	v_mul_f64 v[182:183], v[201:202], s[26:27]
	v_mul_f64 v[184:185], v[198:199], s[14:15]
	;; [unrolled: 1-line block ×3, first 2 shown]
	v_add_f64 v[32:33], v[150:151], v[176:177]
	v_add_f64 v[176:177], v[148:149], v[12:13]
	;; [unrolled: 1-line block ×4, first 2 shown]
	v_mul_f64 v[148:149], v[207:208], s[18:19]
	v_add_f64 v[34:35], v[150:151], v[180:181]
	v_add_f64 v[16:17], v[150:151], v[188:189]
	;; [unrolled: 1-line block ×3, first 2 shown]
	v_mul_f64 v[150:151], v[205:206], s[24:25]
	v_mul_f64 v[180:181], v[203:204], s[20:21]
	;; [unrolled: 1-line block ×3, first 2 shown]
	v_fma_f64 v[22:23], v[4:5], s[24:25], v[148:149]
	v_fma_f64 v[26:27], v[6:7], s[42:43], v[150:151]
	v_add_f64 v[22:23], v[22:23], v[28:29]
	v_fma_f64 v[28:29], v[166:167], s[26:27], v[180:181]
	v_add_f64 v[26:27], v[26:27], v[32:33]
	v_mul_f64 v[32:33], v[203:204], s[2:3]
	v_add_f64 v[22:23], v[28:29], v[22:23]
	v_fma_f64 v[28:29], v[174:175], s[34:35], v[182:183]
	v_add_f64 v[26:27], v[28:29], v[26:27]
	v_fma_f64 v[28:29], v[170:171], s[22:23], v[184:185]
	;; [unrolled: 2-line block ×7, first 2 shown]
	v_add_f64 v[158:159], v[22:23], v[26:27]
	v_mul_f64 v[22:23], v[207:208], s[14:15]
	v_fma_f64 v[26:27], v[4:5], s[22:23], v[22:23]
	v_fma_f64 v[22:23], v[4:5], s[22:23], -v[22:23]
	v_add_f64 v[24:25], v[26:27], v[24:25]
	v_mul_f64 v[26:27], v[205:206], s[22:23]
	v_add_f64 v[22:23], v[22:23], v[217:218]
	v_fma_f64 v[28:29], v[6:7], s[40:41], v[26:27]
	v_fma_f64 v[26:27], v[6:7], s[14:15], v[26:27]
	v_add_f64 v[28:29], v[28:29], v[34:35]
	v_fma_f64 v[34:35], v[166:167], s[12:13], v[32:33]
	v_add_f64 v[26:27], v[26:27], v[219:220]
	v_add_f64 v[24:25], v[34:35], v[24:25]
	v_mul_f64 v[34:35], v[201:202], s[12:13]
	v_fma_f64 v[42:43], v[174:175], s[44:45], v[34:35]
	v_add_f64 v[28:29], v[42:43], v[28:29]
	v_mul_f64 v[42:43], v[198:199], s[38:39]
	v_fma_f64 v[160:161], v[170:171], s[16:17], v[42:43]
	;; [unrolled: 3-line block ×4, first 2 shown]
	v_add_f64 v[24:25], v[213:214], v[24:25]
	v_fma_f64 v[213:214], v[168:169], s[20:21], v[235:236]
	v_add_f64 v[28:29], v[213:214], v[28:29]
	v_fma_f64 v[213:214], v[0:1], s[28:29], v[239:240]
	v_add_f64 v[213:214], v[213:214], v[24:25]
	v_mul_f64 v[24:25], v[192:193], s[28:29]
	v_fma_f64 v[215:216], v[2:3], s[30:31], v[24:25]
	v_fma_f64 v[24:25], v[2:3], s[36:37], v[24:25]
	v_add_f64 v[215:216], v[215:216], v[28:29]
	v_fma_f64 v[28:29], v[166:167], s[12:13], -v[32:33]
	v_mul_f64 v[32:33], v[203:204], s[40:41]
	v_add_f64 v[22:23], v[28:29], v[22:23]
	v_fma_f64 v[28:29], v[174:175], s[2:3], v[34:35]
	v_fma_f64 v[34:35], v[166:167], s[22:23], v[32:33]
	v_add_f64 v[26:27], v[28:29], v[26:27]
	v_fma_f64 v[28:29], v[170:171], s[16:17], -v[42:43]
	v_add_f64 v[22:23], v[28:29], v[22:23]
	v_fma_f64 v[28:29], v[164:165], s[38:39], v[160:161]
	v_add_f64 v[26:27], v[28:29], v[26:27]
	v_fma_f64 v[28:29], v[172:173], s[26:27], -v[162:163]
	v_add_f64 v[22:23], v[28:29], v[22:23]
	v_fma_f64 v[28:29], v[168:169], s[34:35], v[235:236]
	v_mul_f64 v[235:236], v[10:11], s[24:25]
	v_add_f64 v[26:27], v[28:29], v[26:27]
	v_fma_f64 v[28:29], v[0:1], s[28:29], -v[239:240]
	v_mul_f64 v[239:240], v[8:9], s[6:7]
	v_add_f64 v[162:163], v[24:25], v[26:27]
	v_add_f64 v[160:161], v[28:29], v[22:23]
	v_mul_f64 v[22:23], v[207:208], s[2:3]
	v_mul_f64 v[26:27], v[205:206], s[12:13]
	v_fma_f64 v[24:25], v[4:5], s[12:13], v[22:23]
	v_fma_f64 v[28:29], v[6:7], s[44:45], v[26:27]
	v_fma_f64 v[22:23], v[4:5], s[12:13], -v[22:23]
	v_fma_f64 v[26:27], v[6:7], s[2:3], v[26:27]
	v_add_f64 v[24:25], v[24:25], v[36:37]
	v_add_f64 v[28:29], v[28:29], v[221:222]
	v_mul_f64 v[221:222], v[194:195], s[18:19]
	v_add_f64 v[22:23], v[22:23], v[223:224]
	v_add_f64 v[26:27], v[26:27], v[225:226]
	;; [unrolled: 1-line block ×3, first 2 shown]
	v_mul_f64 v[34:35], v[201:202], s[22:23]
	v_fma_f64 v[36:37], v[174:175], s[14:15], v[34:35]
	v_add_f64 v[28:29], v[36:37], v[28:29]
	v_mul_f64 v[36:37], v[198:199], s[36:37]
	v_fma_f64 v[42:43], v[170:171], s[28:29], v[36:37]
	v_add_f64 v[24:25], v[42:43], v[24:25]
	;; [unrolled: 3-line block ×3, first 2 shown]
	v_fma_f64 v[217:218], v[172:173], s[24:25], v[221:222]
	v_add_f64 v[24:25], v[217:218], v[24:25]
	v_fma_f64 v[217:218], v[168:169], s[42:43], v[235:236]
	v_add_f64 v[28:29], v[217:218], v[28:29]
	;; [unrolled: 2-line block ×3, first 2 shown]
	v_mul_f64 v[24:25], v[192:193], s[16:17]
	v_fma_f64 v[219:220], v[2:3], s[38:39], v[24:25]
	v_fma_f64 v[24:25], v[2:3], s[6:7], v[24:25]
	v_add_f64 v[219:220], v[219:220], v[28:29]
	v_fma_f64 v[28:29], v[166:167], s[22:23], -v[32:33]
	v_mul_f64 v[32:33], v[203:204], s[36:37]
	v_add_f64 v[22:23], v[28:29], v[22:23]
	v_fma_f64 v[28:29], v[174:175], s[40:41], v[34:35]
	v_fma_f64 v[34:35], v[166:167], s[28:29], v[32:33]
	v_add_f64 v[26:27], v[28:29], v[26:27]
	v_fma_f64 v[28:29], v[170:171], s[28:29], -v[36:37]
	v_add_f64 v[22:23], v[28:29], v[22:23]
	v_fma_f64 v[28:29], v[164:165], s[36:37], v[42:43]
	v_add_f64 v[26:27], v[28:29], v[26:27]
	v_fma_f64 v[28:29], v[172:173], s[24:25], -v[221:222]
	v_add_f64 v[22:23], v[28:29], v[22:23]
	v_fma_f64 v[28:29], v[168:169], s[18:19], v[235:236]
	v_mul_f64 v[235:236], v[10:11], s[12:13]
	v_add_f64 v[26:27], v[28:29], v[26:27]
	v_fma_f64 v[28:29], v[0:1], s[16:17], -v[239:240]
	v_mul_f64 v[239:240], v[8:9], s[42:43]
	v_add_f64 v[223:224], v[24:25], v[26:27]
	v_add_f64 v[221:222], v[28:29], v[22:23]
	v_mul_f64 v[22:23], v[207:208], s[38:39]
	v_mul_f64 v[26:27], v[205:206], s[16:17]
	v_fma_f64 v[24:25], v[4:5], s[16:17], v[22:23]
	v_fma_f64 v[28:29], v[6:7], s[6:7], v[26:27]
	v_fma_f64 v[22:23], v[4:5], s[16:17], -v[22:23]
	v_fma_f64 v[26:27], v[6:7], s[38:39], v[26:27]
	v_add_f64 v[24:25], v[24:25], v[38:39]
	v_add_f64 v[28:29], v[28:29], v[227:228]
	;; [unrolled: 1-line block ×5, first 2 shown]
	v_mul_f64 v[34:35], v[201:202], s[28:29]
	v_fma_f64 v[36:37], v[174:175], s[30:31], v[34:35]
	v_add_f64 v[28:29], v[36:37], v[28:29]
	v_mul_f64 v[36:37], v[198:199], s[20:21]
	v_fma_f64 v[38:39], v[170:171], s[26:27], v[36:37]
	v_add_f64 v[24:25], v[38:39], v[24:25]
	;; [unrolled: 3-line block ×4, first 2 shown]
	v_fma_f64 v[225:226], v[168:169], s[2:3], v[235:236]
	v_add_f64 v[28:29], v[225:226], v[28:29]
	v_fma_f64 v[225:226], v[0:1], s[24:25], v[239:240]
	v_add_f64 v[225:226], v[225:226], v[24:25]
	v_mul_f64 v[24:25], v[192:193], s[24:25]
	v_fma_f64 v[227:228], v[2:3], s[18:19], v[24:25]
	v_fma_f64 v[24:25], v[2:3], s[42:43], v[24:25]
	v_add_f64 v[227:228], v[227:228], v[28:29]
	v_fma_f64 v[28:29], v[166:167], s[28:29], -v[32:33]
	v_mul_f64 v[32:33], v[203:204], s[18:19]
	v_add_f64 v[22:23], v[28:29], v[22:23]
	v_fma_f64 v[28:29], v[174:175], s[36:37], v[34:35]
	v_fma_f64 v[34:35], v[166:167], s[24:25], v[32:33]
	v_add_f64 v[26:27], v[28:29], v[26:27]
	v_fma_f64 v[28:29], v[170:171], s[26:27], -v[36:37]
	v_add_f64 v[22:23], v[28:29], v[22:23]
	v_fma_f64 v[28:29], v[164:165], s[20:21], v[38:39]
	v_add_f64 v[26:27], v[28:29], v[26:27]
	v_fma_f64 v[28:29], v[172:173], s[12:13], -v[42:43]
	v_add_f64 v[22:23], v[28:29], v[22:23]
	v_fma_f64 v[28:29], v[168:169], s[44:45], v[235:236]
	v_add_f64 v[26:27], v[28:29], v[26:27]
	v_fma_f64 v[28:29], v[0:1], s[24:25], -v[239:240]
	v_mul_f64 v[239:240], v[8:9], s[14:15]
	v_add_f64 v[231:232], v[24:25], v[26:27]
	v_add_f64 v[229:230], v[28:29], v[22:23]
	v_mul_f64 v[22:23], v[207:208], s[34:35]
	v_mul_f64 v[26:27], v[205:206], s[26:27]
	v_fma_f64 v[24:25], v[4:5], s[26:27], v[22:23]
	v_fma_f64 v[28:29], v[6:7], s[20:21], v[26:27]
	v_fma_f64 v[22:23], v[4:5], s[26:27], -v[22:23]
	v_fma_f64 v[26:27], v[6:7], s[34:35], v[26:27]
	v_add_f64 v[24:25], v[24:25], v[40:41]
	v_add_f64 v[28:29], v[28:29], v[233:234]
	;; [unrolled: 1-line block ×5, first 2 shown]
	v_mul_f64 v[34:35], v[201:202], s[24:25]
	v_fma_f64 v[36:37], v[174:175], s[42:43], v[34:35]
	v_add_f64 v[28:29], v[36:37], v[28:29]
	v_mul_f64 v[36:37], v[198:199], s[44:45]
	v_fma_f64 v[38:39], v[170:171], s[12:13], v[36:37]
	v_add_f64 v[24:25], v[38:39], v[24:25]
	;; [unrolled: 3-line block ×5, first 2 shown]
	v_fma_f64 v[233:234], v[0:1], s[22:23], v[239:240]
	v_add_f64 v[233:234], v[233:234], v[24:25]
	v_mul_f64 v[24:25], v[192:193], s[22:23]
	v_fma_f64 v[235:236], v[2:3], s[40:41], v[24:25]
	v_fma_f64 v[24:25], v[2:3], s[14:15], v[24:25]
	v_add_f64 v[235:236], v[235:236], v[28:29]
	v_fma_f64 v[28:29], v[166:167], s[24:25], -v[32:33]
	v_add_f64 v[22:23], v[28:29], v[22:23]
	v_fma_f64 v[28:29], v[174:175], s[18:19], v[34:35]
	v_add_f64 v[26:27], v[28:29], v[26:27]
	v_fma_f64 v[28:29], v[170:171], s[12:13], -v[36:37]
	v_add_f64 v[22:23], v[28:29], v[22:23]
	v_fma_f64 v[28:29], v[164:165], s[44:45], v[38:39]
	v_mul_f64 v[38:39], v[192:193], s[26:27]
	v_add_f64 v[26:27], v[28:29], v[26:27]
	v_fma_f64 v[28:29], v[172:173], s[28:29], -v[40:41]
	v_add_f64 v[22:23], v[28:29], v[22:23]
	v_fma_f64 v[28:29], v[168:169], s[36:37], v[42:43]
	v_add_f64 v[26:27], v[28:29], v[26:27]
	v_fma_f64 v[28:29], v[0:1], s[22:23], -v[239:240]
	v_add_f64 v[239:240], v[24:25], v[26:27]
	v_add_f64 v[237:238], v[28:29], v[22:23]
	v_mul_f64 v[22:23], v[207:208], s[36:37]
	v_fma_f64 v[24:25], v[4:5], s[28:29], v[22:23]
	v_add_f64 v[18:19], v[24:25], v[18:19]
	v_mul_f64 v[24:25], v[205:206], s[28:29]
	v_fma_f64 v[26:27], v[6:7], s[30:31], v[24:25]
	;; [unrolled: 3-line block ×9, first 2 shown]
	v_add_f64 v[8:9], v[8:9], v[18:19]
	v_fma_f64 v[18:19], v[2:3], s[20:21], v[38:39]
	v_add_f64 v[10:11], v[18:19], v[10:11]
	v_fma_f64 v[18:19], v[4:5], s[28:29], -v[22:23]
	v_fma_f64 v[4:5], v[4:5], s[24:25], -v[148:149]
	v_fma_f64 v[22:23], v[170:171], s[22:23], -v[184:185]
	v_add_f64 v[14:15], v[18:19], v[14:15]
	v_fma_f64 v[18:19], v[6:7], s[36:37], v[24:25]
	v_fma_f64 v[6:7], v[6:7], s[18:19], v[150:151]
	v_add_f64 v[4:5], v[4:5], v[176:177]
	v_fma_f64 v[24:25], v[164:165], s[14:15], v[186:187]
	v_add_f64 v[12:13], v[18:19], v[12:13]
	v_fma_f64 v[18:19], v[166:167], s[16:17], -v[26:27]
	v_add_f64 v[6:7], v[6:7], v[178:179]
	v_add_f64 v[14:15], v[18:19], v[14:15]
	v_fma_f64 v[18:19], v[174:175], s[6:7], v[28:29]
	v_add_f64 v[12:13], v[18:19], v[12:13]
	v_fma_f64 v[18:19], v[170:171], s[24:25], -v[30:31]
	v_add_f64 v[14:15], v[18:19], v[14:15]
	v_fma_f64 v[18:19], v[164:165], s[42:43], v[32:33]
	v_add_f64 v[12:13], v[18:19], v[12:13]
	v_fma_f64 v[18:19], v[172:173], s[22:23], -v[34:35]
	;; [unrolled: 4-line block ×3, first 2 shown]
	v_fma_f64 v[16:17], v[2:3], s[34:35], v[38:39]
	v_fma_f64 v[0:1], v[0:1], s[12:13], -v[209:210]
	v_fma_f64 v[2:3], v[2:3], s[2:3], v[211:212]
	v_add_f64 v[12:13], v[12:13], v[14:15]
	v_add_f64 v[14:15], v[16:17], v[18:19]
	v_fma_f64 v[16:17], v[166:167], s[26:27], -v[180:181]
	v_fma_f64 v[18:19], v[174:175], s[20:21], v[182:183]
	v_add_f64 v[4:5], v[16:17], v[4:5]
	v_add_f64 v[6:7], v[18:19], v[6:7]
	;; [unrolled: 4-line block ×3, first 2 shown]
	v_add_f64 v[4:5], v[16:17], v[4:5]
	v_add_f64 v[6:7], v[18:19], v[6:7]
	;; [unrolled: 1-line block ×4, first 2 shown]
	ds_write_b128 v20, v[156:159] offset:16
	ds_write_b128 v20, v[213:216] offset:32
	;; [unrolled: 1-line block ×12, first 2 shown]
	ds_write_b128 v20, v[152:155]
	s_waitcnt lgkmcnt(0)
	s_barrier
	buffer_gl0_inv
	ds_read_b128 v[152:155], v255
	ds_read_b128 v[156:159], v255 offset:624
	ds_read_b128 v[176:179], v255 offset:2704
	;; [unrolled: 1-line block ×11, first 2 shown]
	s_and_saveexec_b32 s0, vcc_lo
	s_cbranch_execz .LBB0_7
; %bb.6:
	ds_read_b128 v[148:151], v255 offset:2496
	ds_read_b128 v[116:119], v255 offset:5200
	;; [unrolled: 1-line block ×3, first 2 shown]
.LBB0_7:
	s_or_b32 exec_lo, exec_lo, s0
	s_waitcnt lgkmcnt(0)
	s_barrier
	buffer_gl0_inv
	buffer_load_dword v20, off, s[48:51], 0 offset:184 ; 4-byte Folded Reload
	v_mul_f64 v[0:1], v[90:91], v[178:179]
	v_mul_f64 v[2:3], v[90:91], v[176:177]
	;; [unrolled: 1-line block ×16, first 2 shown]
	s_mov_b32 s0, 0xe8584caa
	s_mov_b32 s1, 0xbfebb67a
	;; [unrolled: 1-line block ×4, first 2 shown]
	v_fma_f64 v[0:1], v[88:89], v[176:177], v[0:1]
	v_fma_f64 v[2:3], v[88:89], v[178:179], -v[2:3]
	v_fma_f64 v[4:5], v[84:85], v[180:181], v[4:5]
	v_fma_f64 v[6:7], v[84:85], v[182:183], -v[6:7]
	v_fma_f64 v[8:9], v[104:105], v[168:169], v[8:9]
	v_fma_f64 v[10:11], v[100:101], v[172:173], v[10:11]
	v_fma_f64 v[12:13], v[104:105], v[170:171], -v[12:13]
	v_fma_f64 v[14:15], v[100:101], v[174:175], -v[14:15]
	v_fma_f64 v[16:17], v[112:113], v[188:189], v[16:17]
	v_fma_f64 v[22:23], v[112:113], v[190:191], -v[22:23]
	v_fma_f64 v[24:25], v[108:109], v[198:199], -v[24:25]
	v_fma_f64 v[26:27], v[96:97], v[184:185], v[26:27]
	v_fma_f64 v[28:29], v[92:93], v[192:193], v[28:29]
	v_fma_f64 v[30:31], v[96:97], v[186:187], -v[30:31]
	v_fma_f64 v[32:33], v[92:93], v[194:195], -v[32:33]
	v_fma_f64 v[18:19], v[108:109], v[196:197], v[18:19]
	v_add_f64 v[84:85], v[152:153], v[0:1]
	v_add_f64 v[34:35], v[0:1], v[4:5]
	;; [unrolled: 1-line block ×3, first 2 shown]
	v_add_f64 v[88:89], v[2:3], -v[6:7]
	v_add_f64 v[38:39], v[8:9], v[10:11]
	v_add_f64 v[2:3], v[154:155], v[2:3]
	;; [unrolled: 1-line block ×3, first 2 shown]
	v_add_f64 v[94:95], v[0:1], -v[4:5]
	v_add_f64 v[100:101], v[160:161], v[16:17]
	v_add_f64 v[86:87], v[22:23], v[24:25]
	;; [unrolled: 1-line block ×5, first 2 shown]
	v_add_f64 v[108:109], v[12:13], -v[14:15]
	v_add_f64 v[110:111], v[8:9], -v[10:11]
	v_add_f64 v[92:93], v[30:31], v[32:33]
	v_add_f64 v[42:43], v[16:17], v[18:19]
	v_add_f64 v[112:113], v[16:17], -v[18:19]
	v_add_f64 v[102:103], v[162:163], v[22:23]
	v_add_f64 v[22:23], v[22:23], -v[24:25]
	v_add_f64 v[104:105], v[164:165], v[26:27]
	v_add_f64 v[0:1], v[84:85], v[4:5]
	;; [unrolled: 1-line block ×3, first 2 shown]
	v_fma_f64 v[34:35], v[34:35], -0.5, v[152:153]
	v_fma_f64 v[36:37], v[36:37], -0.5, v[154:155]
	v_add_f64 v[30:31], v[30:31], -v[32:33]
	v_fma_f64 v[38:39], v[38:39], -0.5, v[156:157]
	v_add_f64 v[2:3], v[2:3], v[6:7]
	v_fma_f64 v[40:41], v[40:41], -0.5, v[158:159]
	v_add_f64 v[26:27], v[26:27], -v[28:29]
	v_add_f64 v[8:9], v[100:101], v[18:19]
	v_fma_f64 v[114:115], v[86:87], -0.5, v[162:163]
	v_add_f64 v[4:5], v[96:97], v[10:11]
	v_add_f64 v[6:7], v[98:99], v[14:15]
	v_fma_f64 v[152:153], v[90:91], -0.5, v[164:165]
	v_fma_f64 v[154:155], v[92:93], -0.5, v[166:167]
	;; [unrolled: 1-line block ×3, first 2 shown]
	v_add_f64 v[10:11], v[102:103], v[24:25]
	v_add_f64 v[12:13], v[104:105], v[28:29]
	;; [unrolled: 1-line block ×3, first 2 shown]
	v_fma_f64 v[16:17], v[88:89], s[0:1], v[34:35]
	v_fma_f64 v[18:19], v[94:95], s[2:3], v[36:37]
	;; [unrolled: 1-line block ×10, first 2 shown]
	s_waitcnt vmcnt(0)
	ds_write_b128 v20, v[0:3]
	ds_write_b128 v20, v[16:19] offset:208
	ds_write_b128 v20, v[84:87] offset:416
	ds_write_b128 v21, v[4:7]
	ds_write_b128 v21, v[88:91] offset:208
	ds_write_b128 v21, v[92:95] offset:416
	buffer_load_dword v0, off, s[48:51], 0 offset:196 ; 4-byte Folded Reload
	v_fma_f64 v[96:97], v[22:23], s[0:1], v[42:43]
	v_fma_f64 v[100:101], v[22:23], s[2:3], v[42:43]
	;; [unrolled: 1-line block ×6, first 2 shown]
	s_waitcnt vmcnt(0)
	ds_write_b128 v0, v[8:11]
	ds_write_b128 v0, v[96:99] offset:208
	ds_write_b128 v0, v[100:103] offset:416
	buffer_load_dword v0, off, s[48:51], 0 offset:192 ; 4-byte Folded Reload
	s_waitcnt vmcnt(0)
	ds_write_b128 v0, v[12:15]
	ds_write_b128 v0, v[104:107] offset:208
	ds_write_b128 v0, v[108:111] offset:416
	s_and_saveexec_b32 s6, vcc_lo
	s_cbranch_execz .LBB0_9
; %bb.8:
	v_mul_f64 v[0:1], v[58:59], v[116:117]
	v_mul_f64 v[2:3], v[54:55], v[120:121]
	;; [unrolled: 1-line block ×4, first 2 shown]
	v_fma_f64 v[0:1], v[56:57], v[118:119], -v[0:1]
	v_fma_f64 v[2:3], v[52:53], v[122:123], -v[2:3]
	v_fma_f64 v[4:5], v[56:57], v[116:117], v[4:5]
	v_fma_f64 v[6:7], v[52:53], v[120:121], v[6:7]
	v_add_f64 v[14:15], v[150:151], v[0:1]
	v_add_f64 v[8:9], v[0:1], v[2:3]
	v_add_f64 v[16:17], v[0:1], -v[2:3]
	v_add_f64 v[10:11], v[4:5], v[6:7]
	v_add_f64 v[12:13], v[4:5], -v[6:7]
	v_add_f64 v[4:5], v[148:149], v[4:5]
	v_add_f64 v[2:3], v[14:15], v[2:3]
	v_fma_f64 v[8:9], v[8:9], -0.5, v[150:151]
	v_fma_f64 v[18:19], v[10:11], -0.5, v[148:149]
	v_add_f64 v[0:1], v[4:5], v[6:7]
	v_fma_f64 v[6:7], v[12:13], s[0:1], v[8:9]
	v_fma_f64 v[10:11], v[12:13], s[2:3], v[8:9]
	s_clause 0x1
	buffer_load_dword v12, off, s[48:51], 0
	buffer_load_dword v13, off, s[48:51], 0 offset:188
	v_fma_f64 v[8:9], v[16:17], s[0:1], v[18:19]
	v_fma_f64 v[4:5], v[16:17], s[2:3], v[18:19]
	s_waitcnt vmcnt(0)
	v_lshl_add_u32 v12, v13, 4, v12
	ds_write_b128 v12, v[0:3] offset:7488
	ds_write_b128 v12, v[8:11] offset:7696
	;; [unrolled: 1-line block ×3, first 2 shown]
.LBB0_9:
	s_or_b32 exec_lo, exec_lo, s6
	s_waitcnt lgkmcnt(0)
	s_barrier
	buffer_gl0_inv
	ds_read_b128 v[0:3], v255 offset:624
	ds_read_b128 v[52:55], v255
	ds_read_b128 v[4:7], v255 offset:1248
	ds_read_b128 v[8:11], v255 offset:1872
	;; [unrolled: 1-line block ×11, first 2 shown]
	s_mov_b32 s2, 0x4267c47c
	s_mov_b32 s3, 0xbfddbe06
	;; [unrolled: 1-line block ×9, first 2 shown]
	s_waitcnt lgkmcnt(10)
	v_mul_f64 v[28:29], v[74:75], v[6:7]
	s_waitcnt lgkmcnt(9)
	v_mul_f64 v[30:31], v[66:67], v[10:11]
	v_mul_f64 v[32:33], v[66:67], v[8:9]
	s_waitcnt lgkmcnt(8)
	v_mul_f64 v[34:35], v[62:63], v[14:15]
	;; [unrolled: 3-line block ×4, first 2 shown]
	v_mul_f64 v[24:25], v[82:83], v[2:3]
	v_mul_f64 v[26:27], v[82:83], v[0:1]
	s_waitcnt lgkmcnt(0)
	v_mul_f64 v[36:37], v[146:147], v[102:103]
	v_mul_f64 v[42:43], v[138:139], v[94:95]
	;; [unrolled: 1-line block ×5, first 2 shown]
	s_mov_b32 s20, 0xebaa3ed8
	s_mov_b32 s24, 0x2ef20147
	s_mov_b32 s26, 0xb2365da1
	s_mov_b32 s30, 0x24c2f84
	s_mov_b32 s36, 0xd0032e0c
	s_mov_b32 s34, 0x4bc48dbf
	s_mov_b32 s40, 0x93053d00
	s_mov_b32 s1, 0x3fddbe06
	v_fma_f64 v[8:9], v[64:65], v[8:9], v[30:31]
	v_fma_f64 v[10:11], v[64:65], v[10:11], -v[32:33]
	v_fma_f64 v[12:13], v[60:61], v[12:13], v[34:35]
	v_fma_f64 v[14:15], v[60:61], v[14:15], -v[40:41]
	;; [unrolled: 2-line block ×3, first 2 shown]
	v_mul_f64 v[30:31], v[142:143], v[96:97]
	v_fma_f64 v[24:25], v[80:81], v[0:1], v[24:25]
	v_mul_f64 v[0:1], v[74:75], v[4:5]
	v_fma_f64 v[2:3], v[80:81], v[2:3], -v[26:27]
	v_fma_f64 v[26:27], v[72:73], v[4:5], v[28:29]
	v_mul_f64 v[28:29], v[146:147], v[100:101]
	v_mul_f64 v[74:75], v[134:135], v[88:89]
	v_fma_f64 v[32:33], v[144:145], v[100:101], v[36:37]
	v_mul_f64 v[80:81], v[78:79], v[22:23]
	v_mul_f64 v[78:79], v[78:79], v[20:21]
	v_fma_f64 v[40:41], v[136:137], v[92:93], v[42:43]
	v_fma_f64 v[42:43], v[136:137], v[94:95], -v[62:63]
	s_mov_b32 s19, 0xbfefc445
	s_mov_b32 s21, 0x3fbedb7d
	;; [unrolled: 1-line block ×10, first 2 shown]
	v_fma_f64 v[30:31], v[140:141], v[98:99], -v[30:31]
	v_add_f64 v[4:5], v[52:53], v[24:25]
	v_fma_f64 v[38:39], v[72:73], v[6:7], -v[0:1]
	v_add_f64 v[0:1], v[54:55], v[2:3]
	v_mul_f64 v[6:7], v[142:143], v[98:99]
	v_fma_f64 v[28:29], v[144:145], v[102:103], -v[28:29]
	v_fma_f64 v[62:63], v[132:133], v[90:91], -v[74:75]
	v_mul_f64 v[102:103], v[126:127], v[56:57]
	v_mul_f64 v[72:73], v[134:135], v[90:91]
	v_add_f64 v[66:67], v[24:25], v[32:33]
	s_mov_b32 s28, s24
	v_add_f64 v[74:75], v[10:11], v[42:43]
	v_add_f64 v[24:25], v[24:25], -v[32:33]
	s_mov_b32 s13, 0x3fea55e2
	s_mov_b32 s12, s14
	;; [unrolled: 1-line block ×7, first 2 shown]
	v_add_f64 v[4:5], v[4:5], v[26:27]
	v_add_f64 v[70:71], v[38:39], v[30:31]
	;; [unrolled: 1-line block ×3, first 2 shown]
	v_fma_f64 v[0:1], v[76:77], v[20:21], v[80:81]
	v_add_f64 v[20:21], v[2:3], -v[28:29]
	v_add_f64 v[80:81], v[14:15], v[62:63]
	v_fma_f64 v[64:65], v[140:141], v[96:97], v[6:7]
	v_fma_f64 v[6:7], v[124:125], v[58:59], -v[102:103]
	v_fma_f64 v[60:61], v[132:133], v[88:89], v[72:73]
	v_fma_f64 v[58:59], v[128:129], v[86:87], -v[106:107]
	v_add_f64 v[38:39], v[38:39], -v[30:31]
	v_add_f64 v[72:73], v[8:9], v[40:41]
	v_mul_f64 v[126:127], v[74:75], s[40:41]
	v_mul_f64 v[122:123], v[74:75], s[20:21]
	;; [unrolled: 1-line block ×6, first 2 shown]
	v_add_f64 v[34:35], v[4:5], v[8:9]
	v_fma_f64 v[4:5], v[76:77], v[22:23], -v[78:79]
	v_add_f64 v[36:37], v[36:37], v[10:11]
	v_add_f64 v[22:23], v[2:3], v[28:29]
	v_fma_f64 v[2:3], v[124:125], v[56:57], v[82:83]
	v_add_f64 v[82:83], v[14:15], -v[62:63]
	v_fma_f64 v[56:57], v[128:129], v[84:85], v[104:105]
	v_add_f64 v[76:77], v[8:9], -v[40:41]
	v_add_f64 v[8:9], v[10:11], -v[42:43]
	v_mul_f64 v[10:11], v[20:21], s[2:3]
	v_mul_f64 v[86:87], v[20:21], s[14:15]
	v_add_f64 v[68:69], v[26:27], v[64:65]
	v_mul_f64 v[90:91], v[20:21], s[18:19]
	v_mul_f64 v[94:95], v[20:21], s[24:25]
	;; [unrolled: 1-line block ×5, first 2 shown]
	v_add_f64 v[26:27], v[26:27], -v[64:65]
	v_mul_f64 v[102:103], v[70:71], s[16:17]
	v_mul_f64 v[104:105], v[38:39], s[24:25]
	;; [unrolled: 1-line block ×4, first 2 shown]
	v_add_f64 v[34:35], v[34:35], v[12:13]
	v_mul_f64 v[110:111], v[70:71], s[40:41]
	v_add_f64 v[14:15], v[36:37], v[14:15]
	v_mul_f64 v[84:85], v[22:23], s[6:7]
	v_mul_f64 v[88:89], v[22:23], s[16:17]
	;; [unrolled: 1-line block ×12, first 2 shown]
	v_fma_f64 v[8:9], v[66:67], s[6:7], v[10:11]
	v_fma_f64 v[150:151], v[66:67], s[16:17], v[86:87]
	v_fma_f64 v[86:87], v[66:67], s[16:17], -v[86:87]
	v_mul_f64 v[112:113], v[38:39], s[38:39]
	v_mul_f64 v[114:115], v[70:71], s[36:37]
	;; [unrolled: 1-line block ×4, first 2 shown]
	v_add_f64 v[34:35], v[34:35], v[16:17]
	v_mul_f64 v[38:39], v[38:39], s[0:1]
	v_add_f64 v[14:15], v[14:15], v[18:19]
	v_fma_f64 v[148:149], v[24:25], s[0:1], v[84:85]
	v_fma_f64 v[84:85], v[24:25], s[2:3], v[84:85]
	;; [unrolled: 1-line block ×4, first 2 shown]
	v_mul_f64 v[70:71], v[70:71], s[6:7]
	v_fma_f64 v[10:11], v[66:67], s[6:7], -v[10:11]
	v_fma_f64 v[154:155], v[66:67], s[20:21], v[90:91]
	v_fma_f64 v[156:157], v[24:25], s[22:23], v[92:93]
	;; [unrolled: 1-line block ×10, first 2 shown]
	v_fma_f64 v[20:21], v[66:67], s[40:41], -v[20:21]
	v_fma_f64 v[22:23], v[24:25], s[34:35], v[22:23]
	v_fma_f64 v[24:25], v[68:69], s[16:17], v[100:101]
	v_add_f64 v[34:35], v[34:35], v[0:1]
	v_add_f64 v[8:9], v[52:53], v[8:9]
	;; [unrolled: 1-line block ×3, first 2 shown]
	v_fma_f64 v[90:91], v[66:67], s[20:21], -v[90:91]
	v_fma_f64 v[94:95], v[66:67], s[26:27], -v[94:95]
	v_fma_f64 v[162:163], v[66:67], s[36:37], v[96:97]
	v_fma_f64 v[96:97], v[66:67], s[36:37], -v[96:97]
	v_fma_f64 v[66:67], v[26:27], s[12:13], v[102:103]
	v_fma_f64 v[102:103], v[26:27], s[14:15], v[102:103]
	;; [unrolled: 1-line block ×4, first 2 shown]
	v_fma_f64 v[104:105], v[68:69], s[26:27], -v[104:105]
	v_fma_f64 v[106:107], v[26:27], s[24:25], v[106:107]
	v_add_f64 v[84:85], v[54:55], v[84:85]
	v_add_f64 v[86:87], v[52:53], v[86:87]
	v_add_f64 v[88:89], v[54:55], v[88:89]
	v_fma_f64 v[100:101], v[68:69], s[16:17], -v[100:101]
	v_fma_f64 v[174:175], v[68:69], s[40:41], v[108:109]
	v_fma_f64 v[176:177], v[26:27], s[42:43], v[110:111]
	v_fma_f64 v[108:109], v[68:69], s[40:41], -v[108:109]
	v_fma_f64 v[110:111], v[26:27], s[34:35], v[110:111]
	v_fma_f64 v[178:179], v[68:69], s[36:37], v[112:113]
	v_add_f64 v[34:35], v[34:35], v[2:3]
	v_fma_f64 v[180:181], v[26:27], s[30:31], v[114:115]
	v_add_f64 v[14:15], v[14:15], v[6:7]
	v_fma_f64 v[112:113], v[68:69], s[36:37], -v[112:113]
	v_fma_f64 v[114:115], v[26:27], s[38:39], v[114:115]
	v_fma_f64 v[182:183], v[68:69], s[20:21], v[116:117]
	v_fma_f64 v[184:185], v[26:27], s[18:19], v[118:119]
	v_fma_f64 v[116:117], v[68:69], s[20:21], -v[116:117]
	v_fma_f64 v[118:119], v[26:27], s[22:23], v[118:119]
	v_fma_f64 v[186:187], v[68:69], s[6:7], v[38:39]
	;; [unrolled: 1-line block ×3, first 2 shown]
	v_fma_f64 v[38:39], v[68:69], s[6:7], -v[38:39]
	v_fma_f64 v[26:27], v[26:27], s[0:1], v[70:71]
	v_fma_f64 v[68:69], v[72:73], s[20:21], v[120:121]
	v_add_f64 v[148:149], v[54:55], v[148:149]
	v_add_f64 v[10:11], v[52:53], v[10:11]
	;; [unrolled: 1-line block ×18, first 2 shown]
	v_mul_f64 v[142:143], v[82:83], s[24:25]
	v_fma_f64 v[190:191], v[76:77], s[42:43], v[126:127]
	v_fma_f64 v[126:127], v[76:77], s[34:35], v[126:127]
	v_add_f64 v[162:163], v[52:53], v[162:163]
	v_add_f64 v[12:13], v[12:13], -v[60:61]
	v_mul_f64 v[144:145], v[80:81], s[26:27]
	v_fma_f64 v[70:71], v[72:73], s[20:21], -v[120:121]
	v_fma_f64 v[120:121], v[76:77], s[18:19], v[122:123]
	v_fma_f64 v[192:193], v[72:73], s[26:27], v[128:129]
	;; [unrolled: 1-line block ×5, first 2 shown]
	v_add_f64 v[34:35], v[34:35], v[60:61]
	v_fma_f64 v[60:61], v[76:77], s[22:23], v[122:123]
	v_add_f64 v[14:15], v[14:15], v[62:63]
	v_fma_f64 v[122:123], v[72:73], s[40:41], v[124:125]
	v_fma_f64 v[124:125], v[72:73], s[40:41], -v[124:125]
	v_add_f64 v[24:25], v[66:67], v[148:149]
	v_add_f64 v[10:11], v[100:101], v[10:11]
	;; [unrolled: 1-line block ×8, first 2 shown]
	v_fma_f64 v[128:129], v[72:73], s[26:27], -v[128:129]
	v_fma_f64 v[203:204], v[76:77], s[12:13], v[138:139]
	v_add_f64 v[90:91], v[108:109], v[90:91]
	v_mul_f64 v[146:147], v[82:83], s[38:39]
	v_fma_f64 v[198:199], v[76:77], s[2:3], v[134:135]
	v_fma_f64 v[62:63], v[72:73], s[36:37], v[140:141]
	v_add_f64 v[36:37], v[54:55], v[36:37]
	v_fma_f64 v[132:133], v[72:73], s[6:7], -v[132:133]
	v_fma_f64 v[201:202], v[72:73], s[16:17], v[136:137]
	v_add_f64 v[34:35], v[34:35], v[40:41]
	v_fma_f64 v[136:137], v[72:73], s[16:17], -v[136:137]
	v_add_f64 v[14:15], v[14:15], v[42:43]
	v_add_f64 v[42:43], v[52:53], v[96:97]
	;; [unrolled: 1-line block ×12, first 2 shown]
	v_fma_f64 v[40:41], v[76:77], s[38:39], v[74:75]
	v_fma_f64 v[74:75], v[76:77], s[30:31], v[74:75]
	v_add_f64 v[24:25], v[60:61], v[24:25]
	v_add_f64 v[38:39], v[70:71], v[10:11]
	;; [unrolled: 1-line block ×3, first 2 shown]
	v_fma_f64 v[134:135], v[76:77], s[0:1], v[134:135]
	v_fma_f64 v[138:139], v[76:77], s[14:15], v[138:139]
	v_add_f64 v[110:111], v[16:17], v[56:57]
	v_add_f64 v[34:35], v[34:35], v[64:65]
	v_add_f64 v[16:17], v[16:17], -v[56:57]
	v_add_f64 v[14:15], v[14:15], v[30:31]
	v_add_f64 v[30:31], v[112:113], v[94:95]
	;; [unrolled: 1-line block ×7, first 2 shown]
	v_fma_f64 v[86:87], v[78:79], s[26:27], v[142:143]
	v_add_f64 v[106:107], v[188:189], v[166:167]
	v_add_f64 v[70:71], v[192:193], v[88:89]
	;; [unrolled: 1-line block ×3, first 2 shown]
	v_fma_f64 v[88:89], v[12:13], s[28:29], v[144:145]
	v_mul_f64 v[100:101], v[82:83], s[0:1]
	v_add_f64 v[54:55], v[122:123], v[54:55]
	v_add_f64 v[76:77], v[198:199], v[104:105]
	v_mul_f64 v[104:105], v[82:83], s[18:19]
	v_add_f64 v[42:43], v[116:117], v[42:43]
	v_add_f64 v[96:97], v[118:119], v[96:97]
	;; [unrolled: 1-line block ×3, first 2 shown]
	v_fma_f64 v[74:75], v[78:79], s[36:37], -v[146:147]
	v_add_f64 v[8:9], v[34:35], v[32:33]
	v_fma_f64 v[32:33], v[72:73], s[36:37], -v[140:141]
	v_mul_f64 v[72:73], v[80:81], s[36:37]
	v_add_f64 v[10:11], v[14:15], v[28:29]
	v_add_f64 v[28:29], v[130:131], v[92:93]
	;; [unrolled: 1-line block ×3, first 2 shown]
	v_fma_f64 v[92:93], v[78:79], s[26:27], -v[142:143]
	v_mul_f64 v[102:103], v[80:81], s[6:7]
	v_add_f64 v[14:15], v[128:129], v[90:91]
	v_add_f64 v[90:91], v[203:204], v[94:95]
	v_fma_f64 v[94:95], v[12:13], s[24:25], v[144:145]
	v_add_f64 v[62:63], v[62:63], v[98:99]
	v_fma_f64 v[98:99], v[78:79], s[36:37], v[146:147]
	v_add_f64 v[26:27], v[86:87], v[26:27]
	v_mul_f64 v[86:87], v[80:81], s[40:41]
	v_add_f64 v[40:41], v[40:41], v[106:107]
	v_mul_f64 v[106:107], v[80:81], s[20:21]
	v_add_f64 v[24:25], v[88:89], v[24:25]
	v_fma_f64 v[88:89], v[78:79], s[6:7], v[100:101]
	v_mul_f64 v[80:81], v[80:81], s[16:17]
	v_add_f64 v[42:43], v[136:137], v[42:43]
	v_add_f64 v[96:97], v[138:139], v[96:97]
	;; [unrolled: 1-line block ×4, first 2 shown]
	v_add_f64 v[32:33], v[18:19], -v[58:59]
	v_add_f64 v[18:19], v[18:19], v[58:59]
	v_fma_f64 v[108:109], v[12:13], s[30:31], v[72:73]
	v_mul_f64 v[58:59], v[82:83], s[42:43]
	v_fma_f64 v[72:73], v[12:13], s[38:39], v[72:73]
	v_add_f64 v[38:39], v[92:93], v[38:39]
	v_fma_f64 v[92:93], v[12:13], s[2:3], v[102:103]
	v_mul_f64 v[82:83], v[82:83], s[12:13]
	v_add_f64 v[52:53], v[94:95], v[52:53]
	v_fma_f64 v[94:95], v[78:79], s[6:7], -v[100:101]
	v_add_f64 v[54:55], v[98:99], v[54:55]
	v_fma_f64 v[98:99], v[78:79], s[20:21], v[104:105]
	v_fma_f64 v[100:101], v[12:13], s[0:1], v[102:103]
	;; [unrolled: 1-line block ×3, first 2 shown]
	v_add_f64 v[64:65], v[182:183], v[162:163]
	v_fma_f64 v[102:103], v[12:13], s[22:23], v[106:107]
	v_fma_f64 v[104:105], v[78:79], s[20:21], -v[104:105]
	v_fma_f64 v[106:107], v[12:13], s[18:19], v[106:107]
	v_add_f64 v[70:71], v[88:89], v[70:71]
	v_fma_f64 v[88:89], v[12:13], s[14:15], v[80:81]
	v_add_f64 v[36:37], v[114:115], v[36:37]
	v_add_f64 v[30:31], v[132:133], v[30:31]
	v_mul_f64 v[112:113], v[32:33], s[30:31]
	v_mul_f64 v[56:57], v[18:19], s[36:37]
	v_add_f64 v[60:61], v[108:109], v[60:61]
	v_fma_f64 v[108:109], v[78:79], s[40:41], v[58:59]
	v_add_f64 v[68:69], v[72:73], v[68:69]
	v_fma_f64 v[72:73], v[12:13], s[34:35], v[86:87]
	v_fma_f64 v[58:59], v[78:79], s[40:41], -v[58:59]
	v_add_f64 v[84:85], v[92:93], v[84:85]
	v_fma_f64 v[86:87], v[78:79], s[16:17], v[82:83]
	v_fma_f64 v[78:79], v[78:79], s[16:17], -v[82:83]
	v_fma_f64 v[12:13], v[12:13], s[12:13], v[80:81]
	v_mul_f64 v[82:83], v[32:33], s[22:23]
	v_mul_f64 v[92:93], v[18:19], s[20:21]
	v_add_f64 v[14:15], v[94:95], v[14:15]
	v_add_f64 v[34:35], v[98:99], v[34:35]
	v_mul_f64 v[98:99], v[32:33], s[14:15]
	v_add_f64 v[28:29], v[100:101], v[28:29]
	v_mul_f64 v[100:101], v[18:19], s[16:17]
	v_add_f64 v[64:65], v[201:202], v[64:65]
	v_add_f64 v[40:41], v[88:89], v[40:41]
	;; [unrolled: 1-line block ×4, first 2 shown]
	v_fma_f64 v[80:81], v[110:111], s[36:37], v[112:113]
	v_fma_f64 v[94:95], v[16:17], s[38:39], v[56:57]
	;; [unrolled: 1-line block ×3, first 2 shown]
	v_add_f64 v[30:31], v[104:105], v[30:31]
	v_add_f64 v[72:73], v[72:73], v[90:91]
	v_add_f64 v[42:43], v[58:59], v[42:43]
	v_add_f64 v[58:59], v[74:75], v[96:97]
	v_fma_f64 v[74:75], v[110:111], s[36:37], -v[112:113]
	v_mul_f64 v[90:91], v[32:33], s[42:43]
	v_mul_f64 v[96:97], v[18:19], s[40:41]
	v_add_f64 v[62:63], v[86:87], v[62:63]
	v_add_f64 v[20:21], v[78:79], v[20:21]
	;; [unrolled: 1-line block ×3, first 2 shown]
	v_add_f64 v[22:23], v[4:5], -v[6:7]
	v_add_f64 v[4:5], v[4:5], v[6:7]
	v_fma_f64 v[78:79], v[16:17], s[18:19], v[92:93]
	v_mul_f64 v[86:87], v[32:33], s[0:1]
	v_fma_f64 v[88:89], v[110:111], s[16:17], v[98:99]
	v_fma_f64 v[98:99], v[110:111], s[16:17], -v[98:99]
	v_mul_f64 v[32:33], v[32:33], s[24:25]
	v_add_f64 v[64:65], v[108:109], v[64:65]
	v_add_f64 v[6:7], v[80:81], v[26:27]
	v_fma_f64 v[26:27], v[110:111], s[20:21], v[82:83]
	v_fma_f64 v[80:81], v[110:111], s[20:21], -v[82:83]
	v_add_f64 v[24:25], v[94:95], v[24:25]
	v_mul_f64 v[94:95], v[18:19], s[6:7]
	v_fma_f64 v[82:83], v[16:17], s[22:23], v[92:93]
	v_fma_f64 v[92:93], v[16:17], s[12:13], v[100:101]
	v_mul_f64 v[18:19], v[18:19], s[26:27]
	v_add_f64 v[38:39], v[74:75], v[38:39]
	v_fma_f64 v[74:75], v[110:111], s[40:41], v[90:91]
	v_fma_f64 v[102:103], v[16:17], s[34:35], v[96:97]
	v_add_f64 v[36:37], v[106:107], v[36:37]
	v_fma_f64 v[100:101], v[16:17], s[14:15], v[100:101]
	v_add_f64 v[104:105], v[56:57], v[52:53]
	v_add_f64 v[52:53], v[0:1], v[2:3]
	v_add_f64 v[56:57], v[0:1], -v[2:3]
	v_mul_f64 v[106:107], v[22:23], s[34:35]
	v_mul_f64 v[108:109], v[4:5], s[40:41]
	v_fma_f64 v[0:1], v[110:111], s[40:41], -v[90:91]
	v_fma_f64 v[2:3], v[16:17], s[42:43], v[96:97]
	v_mul_f64 v[90:91], v[22:23], s[0:1]
	v_mul_f64 v[96:97], v[4:5], s[36:37]
	v_add_f64 v[26:27], v[26:27], v[54:55]
	v_add_f64 v[54:55], v[78:79], v[60:61]
	;; [unrolled: 1-line block ×3, first 2 shown]
	v_fma_f64 v[66:67], v[110:111], s[6:7], v[86:87]
	v_fma_f64 v[78:79], v[16:17], s[2:3], v[94:95]
	v_add_f64 v[80:81], v[82:83], v[68:69]
	v_add_f64 v[82:83], v[98:99], v[14:15]
	v_fma_f64 v[14:15], v[110:111], s[6:7], -v[86:87]
	v_add_f64 v[68:69], v[88:89], v[70:71]
	v_add_f64 v[70:71], v[92:93], v[84:85]
	;; [unrolled: 1-line block ×4, first 2 shown]
	v_fma_f64 v[76:77], v[16:17], s[0:1], v[94:95]
	v_fma_f64 v[84:85], v[110:111], s[26:27], v[32:33]
	;; [unrolled: 1-line block ×4, first 2 shown]
	v_mul_f64 v[92:93], v[4:5], s[6:7]
	v_fma_f64 v[32:33], v[110:111], s[26:27], -v[32:33]
	v_mul_f64 v[94:95], v[22:23], s[30:31]
	v_mul_f64 v[98:99], v[4:5], s[16:17]
	v_add_f64 v[28:29], v[100:101], v[28:29]
	v_fma_f64 v[18:19], v[52:53], s[40:41], v[106:107]
	v_fma_f64 v[88:89], v[56:57], s[42:43], v[108:109]
	v_mul_f64 v[100:101], v[4:5], s[26:27]
	v_mul_f64 v[4:5], v[4:5], s[20:21]
	v_add_f64 v[64:65], v[66:67], v[64:65]
	v_mul_f64 v[66:67], v[22:23], s[12:13]
	v_add_f64 v[72:73], v[78:79], v[72:73]
	v_mul_f64 v[78:79], v[22:23], s[24:25]
	v_add_f64 v[42:43], v[14:15], v[42:43]
	v_mul_f64 v[14:15], v[22:23], s[22:23]
	v_fma_f64 v[22:23], v[56:57], s[38:39], v[96:97]
	v_add_f64 v[30:31], v[0:1], v[30:31]
	v_add_f64 v[36:37], v[2:3], v[36:37]
	;; [unrolled: 1-line block ×6, first 2 shown]
	v_fma_f64 v[12:13], v[52:53], s[6:7], v[90:91]
	v_fma_f64 v[16:17], v[56:57], s[2:3], v[92:93]
	v_add_f64 v[32:33], v[32:33], v[20:21]
	v_fma_f64 v[20:21], v[52:53], s[36:37], v[94:95]
	v_fma_f64 v[76:77], v[56:57], s[14:15], v[98:99]
	v_add_f64 v[0:1], v[18:19], v[6:7]
	v_add_f64 v[2:3], v[88:89], v[24:25]
	v_fma_f64 v[18:19], v[52:53], s[6:7], -v[90:91]
	v_fma_f64 v[88:89], v[56:57], s[28:29], v[100:101]
	v_fma_f64 v[24:25], v[52:53], s[36:37], -v[94:95]
	v_fma_f64 v[58:59], v[52:53], s[16:17], v[66:67]
	;; [unrolled: 2-line block ×3, first 2 shown]
	v_fma_f64 v[94:95], v[56:57], s[18:19], v[4:5]
	v_fma_f64 v[90:91], v[52:53], s[20:21], v[14:15]
	v_fma_f64 v[6:7], v[52:53], s[40:41], -v[106:107]
	v_fma_f64 v[78:79], v[52:53], s[26:27], -v[78:79]
	;; [unrolled: 1-line block ×3, first 2 shown]
	v_fma_f64 v[110:111], v[56:57], s[22:23], v[4:5]
	v_fma_f64 v[100:101], v[56:57], s[24:25], v[100:101]
	;; [unrolled: 1-line block ×6, first 2 shown]
	v_add_f64 v[12:13], v[12:13], v[26:27]
	v_add_f64 v[14:15], v[16:17], v[54:55]
	;; [unrolled: 1-line block ×4, first 2 shown]
	s_mov_b32 s0, 0xfc7729e9
	v_add_f64 v[16:17], v[18:19], v[60:61]
	s_mov_b32 s1, 0x3f602864
	v_add_f64 v[52:53], v[24:25], v[82:83]
	v_add_f64 v[56:57], v[58:59], v[34:35]
	;; [unrolled: 1-line block ×17, first 2 shown]
	ds_write_b128 v255, v[8:11]
	ds_write_b128 v255, v[0:3] offset:624
	ds_write_b128 v255, v[12:15] offset:1248
	;; [unrolled: 1-line block ×12, first 2 shown]
	s_waitcnt lgkmcnt(0)
	s_barrier
	buffer_gl0_inv
	ds_read_b128 v[0:3], v255
	ds_read_b128 v[4:7], v255 offset:624
	s_clause 0x3
	buffer_load_dword v32, off, s[48:51], 0 offset:40
	buffer_load_dword v33, off, s[48:51], 0 offset:44
	;; [unrolled: 1-line block ×4, first 2 shown]
	ds_read_b128 v[8:11], v255 offset:1248
	v_mad_u64_u32 v[18:19], null, s10, v200, 0
	s_mul_i32 s2, s9, 0x270
	s_mul_hi_u32 s3, s8, 0x270
	s_add_i32 s2, s3, s2
	s_mul_i32 s3, s8, 0x270
	s_waitcnt vmcnt(0) lgkmcnt(2)
	v_mul_f64 v[12:13], v[34:35], v[2:3]
	v_mul_f64 v[16:17], v[34:35], v[0:1]
	s_clause 0x4
	buffer_load_dword v35, off, s[48:51], 0 offset:56
	buffer_load_dword v36, off, s[48:51], 0 offset:60
	;; [unrolled: 1-line block ×5, first 2 shown]
	v_fma_f64 v[20:21], v[32:33], v[0:1], v[12:13]
	ds_read_b128 v[12:15], v255 offset:1872
	v_mov_b32_e32 v0, v19
	v_fma_f64 v[16:17], v[32:33], v[2:3], -v[16:17]
	v_mad_u64_u32 v[32:33], null, s11, v200, v[0:1]
	s_waitcnt vmcnt(1) lgkmcnt(2)
	v_mul_f64 v[22:23], v[37:38], v[6:7]
	v_mul_f64 v[24:25], v[37:38], v[4:5]
	s_clause 0x3
	buffer_load_dword v37, off, s[48:51], 0 offset:104
	buffer_load_dword v38, off, s[48:51], 0 offset:108
	;; [unrolled: 1-line block ×4, first 2 shown]
	s_waitcnt vmcnt(4)
	v_mad_u64_u32 v[26:27], null, s8, v34, 0
	ds_read_b128 v[0:3], v255 offset:2496
	v_mov_b32_e32 v19, v27
	v_mad_u64_u32 v[33:34], null, s9, v34, v[19:20]
	v_mov_b32_e32 v19, v32
	v_fma_f64 v[22:23], v[35:36], v[4:5], v[22:23]
	v_mul_f64 v[4:5], v[20:21], s[0:1]
	v_mov_b32_e32 v27, v33
	v_fma_f64 v[24:25], v[35:36], v[6:7], -v[24:25]
	v_lshlrev_b64 v[18:19], 4, v[18:19]
	v_mul_f64 v[6:7], v[16:17], s[0:1]
	v_lshlrev_b64 v[16:17], 4, v[26:27]
	v_add_co_u32 v18, vcc_lo, s4, v18
	v_add_co_ci_u32_e32 v19, vcc_lo, s5, v19, vcc_lo
	v_add_co_u32 v36, vcc_lo, v18, v16
	s_waitcnt vmcnt(0) lgkmcnt(2)
	v_mul_f64 v[28:29], v[39:40], v[10:11]
	v_mul_f64 v[30:31], v[39:40], v[8:9]
	v_fma_f64 v[20:21], v[37:38], v[8:9], v[28:29]
	v_fma_f64 v[28:29], v[37:38], v[10:11], -v[30:31]
	s_clause 0x3
	buffer_load_dword v38, off, s[48:51], 0 offset:88
	buffer_load_dword v39, off, s[48:51], 0 offset:92
	;; [unrolled: 1-line block ×4, first 2 shown]
	ds_read_b128 v[8:11], v255 offset:3120
	v_add_co_ci_u32_e32 v37, vcc_lo, v19, v17, vcc_lo
	v_mul_f64 v[16:17], v[22:23], s[0:1]
	v_mul_f64 v[18:19], v[24:25], s[0:1]
	;; [unrolled: 1-line block ×4, first 2 shown]
	s_waitcnt vmcnt(0) lgkmcnt(2)
	v_mul_f64 v[30:31], v[40:41], v[14:15]
	v_mul_f64 v[32:33], v[40:41], v[12:13]
	s_clause 0x3
	buffer_load_dword v40, off, s[48:51], 0 offset:152
	buffer_load_dword v41, off, s[48:51], 0 offset:156
	;; [unrolled: 1-line block ×4, first 2 shown]
	v_fma_f64 v[24:25], v[38:39], v[12:13], v[30:31]
	v_fma_f64 v[28:29], v[38:39], v[14:15], -v[32:33]
	ds_read_b128 v[12:15], v255 offset:3744
	s_clause 0x3
	buffer_load_dword v62, off, s[48:51], 0 offset:8
	buffer_load_dword v63, off, s[48:51], 0 offset:12
	;; [unrolled: 1-line block ×4, first 2 shown]
	v_add_co_u32 v30, vcc_lo, v36, s3
	v_add_co_ci_u32_e32 v31, vcc_lo, s2, v37, vcc_lo
	global_store_dwordx4 v[36:37], v[4:7], off
	v_add_co_u32 v38, vcc_lo, v30, s3
	v_add_co_ci_u32_e32 v39, vcc_lo, s2, v31, vcc_lo
	v_add_co_u32 v60, vcc_lo, v38, s3
	v_add_co_ci_u32_e32 v61, vcc_lo, s2, v39, vcc_lo
	v_mul_f64 v[4:5], v[24:25], s[0:1]
	v_mul_f64 v[6:7], v[28:29], s[0:1]
	s_waitcnt vmcnt(4) lgkmcnt(2)
	v_mul_f64 v[26:27], v[42:43], v[2:3]
	v_mul_f64 v[34:35], v[42:43], v[0:1]
	v_fma_f64 v[32:33], v[40:41], v[0:1], v[26:27]
	v_fma_f64 v[34:35], v[40:41], v[2:3], -v[34:35]
	ds_read_b128 v[0:3], v255 offset:4368
	global_store_dwordx4 v[30:31], v[16:19], off
	global_store_dwordx4 v[38:39], v[20:23], off
	s_waitcnt vmcnt(0) lgkmcnt(2)
	v_mul_f64 v[40:41], v[64:65], v[10:11]
	v_mul_f64 v[42:43], v[64:65], v[8:9]
	s_clause 0x3
	buffer_load_dword v64, off, s[48:51], 0 offset:24
	buffer_load_dword v65, off, s[48:51], 0 offset:28
	;; [unrolled: 1-line block ×4, first 2 shown]
	ds_read_b128 v[16:19], v255 offset:4992
	ds_read_b128 v[20:23], v255 offset:5616
	;; [unrolled: 1-line block ×5, first 2 shown]
	s_clause 0x3
	buffer_load_dword v72, off, s[48:51], 0 offset:72
	buffer_load_dword v73, off, s[48:51], 0 offset:76
	;; [unrolled: 1-line block ×4, first 2 shown]
	v_mul_f64 v[52:53], v[32:33], s[0:1]
	v_mul_f64 v[54:55], v[34:35], s[0:1]
	v_fma_f64 v[8:9], v[62:63], v[8:9], v[40:41]
	v_fma_f64 v[10:11], v[62:63], v[10:11], -v[42:43]
	v_add_co_u32 v40, vcc_lo, v60, s3
	s_waitcnt lgkmcnt(1)
	v_mul_f64 v[68:69], v[46:47], v[38:39]
	v_mul_f64 v[46:47], v[46:47], v[36:37]
	s_waitcnt lgkmcnt(0)
	v_mul_f64 v[70:71], v[50:51], v[58:59]
	v_mul_f64 v[50:51], v[50:51], v[56:57]
	v_add_co_ci_u32_e32 v41, vcc_lo, s2, v61, vcc_lo
	s_waitcnt vmcnt(4)
	v_mul_f64 v[28:29], v[66:67], v[14:15]
	v_mul_f64 v[30:31], v[66:67], v[12:13]
	s_waitcnt vmcnt(0)
	v_mul_f64 v[32:33], v[74:75], v[2:3]
	v_mul_f64 v[34:35], v[74:75], v[0:1]
	s_clause 0x3
	buffer_load_dword v74, off, s[48:51], 0 offset:120
	buffer_load_dword v75, off, s[48:51], 0 offset:124
	;; [unrolled: 1-line block ×4, first 2 shown]
	v_fma_f64 v[12:13], v[64:65], v[12:13], v[28:29]
	v_fma_f64 v[14:15], v[64:65], v[14:15], -v[30:31]
	s_waitcnt vmcnt(0)
	v_mul_f64 v[42:43], v[76:77], v[18:19]
	v_mul_f64 v[62:63], v[76:77], v[16:17]
	s_clause 0x3
	buffer_load_dword v76, off, s[48:51], 0 offset:136
	buffer_load_dword v77, off, s[48:51], 0 offset:140
	;; [unrolled: 1-line block ×4, first 2 shown]
	v_fma_f64 v[16:17], v[74:75], v[16:17], v[42:43]
	v_fma_f64 v[18:19], v[74:75], v[18:19], -v[62:63]
	s_waitcnt vmcnt(0)
	v_mul_f64 v[28:29], v[78:79], v[22:23]
	v_mul_f64 v[30:31], v[78:79], v[20:21]
	s_clause 0x3
	buffer_load_dword v78, off, s[48:51], 0 offset:168
	buffer_load_dword v79, off, s[48:51], 0 offset:172
	;; [unrolled: 1-line block ×4, first 2 shown]
	global_store_dwordx4 v[60:61], v[4:7], off
	global_store_dwordx4 v[40:41], v[52:55], off
	v_mul_f64 v[4:5], v[8:9], s[0:1]
	v_mul_f64 v[6:7], v[10:11], s[0:1]
	v_fma_f64 v[8:9], v[72:73], v[0:1], v[32:33]
	v_fma_f64 v[10:11], v[72:73], v[2:3], -v[34:35]
	v_fma_f64 v[34:35], v[48:49], v[56:57], v[70:71]
	v_add_co_u32 v32, vcc_lo, v40, s3
	v_add_co_ci_u32_e32 v33, vcc_lo, s2, v41, vcc_lo
	v_mul_f64 v[0:1], v[12:13], s[0:1]
	v_mul_f64 v[2:3], v[14:15], s[0:1]
	;; [unrolled: 1-line block ×4, first 2 shown]
	v_fma_f64 v[20:21], v[76:77], v[20:21], v[28:29]
	v_fma_f64 v[22:23], v[76:77], v[22:23], -v[30:31]
	v_fma_f64 v[28:29], v[44:45], v[36:37], v[68:69]
	v_fma_f64 v[30:31], v[44:45], v[38:39], -v[46:47]
	v_fma_f64 v[36:37], v[48:49], v[58:59], -v[50:51]
	v_add_co_u32 v38, vcc_lo, v32, s3
	v_add_co_ci_u32_e32 v39, vcc_lo, s2, v33, vcc_lo
	v_mul_f64 v[8:9], v[8:9], s[0:1]
	v_add_co_u32 v40, vcc_lo, v38, s3
	v_add_co_ci_u32_e32 v41, vcc_lo, s2, v39, vcc_lo
	v_mul_f64 v[10:11], v[10:11], s[0:1]
	v_add_co_u32 v42, vcc_lo, v40, s3
	v_add_co_ci_u32_e32 v43, vcc_lo, s2, v41, vcc_lo
	global_store_dwordx4 v[32:33], v[4:7], off
	global_store_dwordx4 v[38:39], v[0:3], off
	v_mul_f64 v[16:17], v[20:21], s[0:1]
	v_mul_f64 v[18:19], v[22:23], s[0:1]
	global_store_dwordx4 v[40:41], v[8:11], off
	s_waitcnt vmcnt(0)
	v_mul_f64 v[64:65], v[80:81], v[26:27]
	v_mul_f64 v[66:67], v[80:81], v[24:25]
	v_fma_f64 v[24:25], v[78:79], v[24:25], v[64:65]
	v_fma_f64 v[26:27], v[78:79], v[26:27], -v[66:67]
	v_mul_f64 v[20:21], v[24:25], s[0:1]
	v_mul_f64 v[22:23], v[26:27], s[0:1]
	;; [unrolled: 1-line block ×6, first 2 shown]
	v_add_co_u32 v34, vcc_lo, v42, s3
	v_add_co_ci_u32_e32 v35, vcc_lo, s2, v43, vcc_lo
	v_add_co_u32 v4, vcc_lo, v34, s3
	v_add_co_ci_u32_e32 v5, vcc_lo, s2, v35, vcc_lo
	;; [unrolled: 2-line block ×4, first 2 shown]
	global_store_dwordx4 v[42:43], v[12:15], off
	global_store_dwordx4 v[34:35], v[16:19], off
	;; [unrolled: 1-line block ×5, first 2 shown]
.LBB0_10:
	s_endpgm
	.section	.rodata,"a",@progbits
	.p2align	6, 0x0
	.amdhsa_kernel bluestein_single_fwd_len507_dim1_dp_op_CI_CI
		.amdhsa_group_segment_fixed_size 24336
		.amdhsa_private_segment_fixed_size 260
		.amdhsa_kernarg_size 104
		.amdhsa_user_sgpr_count 6
		.amdhsa_user_sgpr_private_segment_buffer 1
		.amdhsa_user_sgpr_dispatch_ptr 0
		.amdhsa_user_sgpr_queue_ptr 0
		.amdhsa_user_sgpr_kernarg_segment_ptr 1
		.amdhsa_user_sgpr_dispatch_id 0
		.amdhsa_user_sgpr_flat_scratch_init 0
		.amdhsa_user_sgpr_private_segment_size 0
		.amdhsa_wavefront_size32 1
		.amdhsa_uses_dynamic_stack 0
		.amdhsa_system_sgpr_private_segment_wavefront_offset 1
		.amdhsa_system_sgpr_workgroup_id_x 1
		.amdhsa_system_sgpr_workgroup_id_y 0
		.amdhsa_system_sgpr_workgroup_id_z 0
		.amdhsa_system_sgpr_workgroup_info 0
		.amdhsa_system_vgpr_workitem_id 0
		.amdhsa_next_free_vgpr 256
		.amdhsa_next_free_sgpr 52
		.amdhsa_reserve_vcc 1
		.amdhsa_reserve_flat_scratch 0
		.amdhsa_float_round_mode_32 0
		.amdhsa_float_round_mode_16_64 0
		.amdhsa_float_denorm_mode_32 3
		.amdhsa_float_denorm_mode_16_64 3
		.amdhsa_dx10_clamp 1
		.amdhsa_ieee_mode 1
		.amdhsa_fp16_overflow 0
		.amdhsa_workgroup_processor_mode 1
		.amdhsa_memory_ordered 1
		.amdhsa_forward_progress 0
		.amdhsa_shared_vgpr_count 0
		.amdhsa_exception_fp_ieee_invalid_op 0
		.amdhsa_exception_fp_denorm_src 0
		.amdhsa_exception_fp_ieee_div_zero 0
		.amdhsa_exception_fp_ieee_overflow 0
		.amdhsa_exception_fp_ieee_underflow 0
		.amdhsa_exception_fp_ieee_inexact 0
		.amdhsa_exception_int_div_zero 0
	.end_amdhsa_kernel
	.text
.Lfunc_end0:
	.size	bluestein_single_fwd_len507_dim1_dp_op_CI_CI, .Lfunc_end0-bluestein_single_fwd_len507_dim1_dp_op_CI_CI
                                        ; -- End function
	.section	.AMDGPU.csdata,"",@progbits
; Kernel info:
; codeLenInByte = 23288
; NumSgprs: 54
; NumVgprs: 256
; ScratchSize: 260
; MemoryBound: 0
; FloatMode: 240
; IeeeMode: 1
; LDSByteSize: 24336 bytes/workgroup (compile time only)
; SGPRBlocks: 6
; VGPRBlocks: 31
; NumSGPRsForWavesPerEU: 54
; NumVGPRsForWavesPerEU: 256
; Occupancy: 4
; WaveLimiterHint : 1
; COMPUTE_PGM_RSRC2:SCRATCH_EN: 1
; COMPUTE_PGM_RSRC2:USER_SGPR: 6
; COMPUTE_PGM_RSRC2:TRAP_HANDLER: 0
; COMPUTE_PGM_RSRC2:TGID_X_EN: 1
; COMPUTE_PGM_RSRC2:TGID_Y_EN: 0
; COMPUTE_PGM_RSRC2:TGID_Z_EN: 0
; COMPUTE_PGM_RSRC2:TIDIG_COMP_CNT: 0
	.text
	.p2alignl 6, 3214868480
	.fill 48, 4, 3214868480
	.type	__hip_cuid_484daeecfc1b97a8,@object ; @__hip_cuid_484daeecfc1b97a8
	.section	.bss,"aw",@nobits
	.globl	__hip_cuid_484daeecfc1b97a8
__hip_cuid_484daeecfc1b97a8:
	.byte	0                               ; 0x0
	.size	__hip_cuid_484daeecfc1b97a8, 1

	.ident	"AMD clang version 19.0.0git (https://github.com/RadeonOpenCompute/llvm-project roc-6.4.0 25133 c7fe45cf4b819c5991fe208aaa96edf142730f1d)"
	.section	".note.GNU-stack","",@progbits
	.addrsig
	.addrsig_sym __hip_cuid_484daeecfc1b97a8
	.amdgpu_metadata
---
amdhsa.kernels:
  - .args:
      - .actual_access:  read_only
        .address_space:  global
        .offset:         0
        .size:           8
        .value_kind:     global_buffer
      - .actual_access:  read_only
        .address_space:  global
        .offset:         8
        .size:           8
        .value_kind:     global_buffer
      - .actual_access:  read_only
        .address_space:  global
        .offset:         16
        .size:           8
        .value_kind:     global_buffer
      - .actual_access:  read_only
        .address_space:  global
        .offset:         24
        .size:           8
        .value_kind:     global_buffer
      - .actual_access:  read_only
        .address_space:  global
        .offset:         32
        .size:           8
        .value_kind:     global_buffer
      - .offset:         40
        .size:           8
        .value_kind:     by_value
      - .address_space:  global
        .offset:         48
        .size:           8
        .value_kind:     global_buffer
      - .address_space:  global
        .offset:         56
        .size:           8
        .value_kind:     global_buffer
      - .address_space:  global
        .offset:         64
        .size:           8
        .value_kind:     global_buffer
      - .address_space:  global
        .offset:         72
        .size:           8
        .value_kind:     global_buffer
      - .offset:         80
        .size:           4
        .value_kind:     by_value
      - .address_space:  global
        .offset:         88
        .size:           8
        .value_kind:     global_buffer
      - .address_space:  global
        .offset:         96
        .size:           8
        .value_kind:     global_buffer
    .group_segment_fixed_size: 24336
    .kernarg_segment_align: 8
    .kernarg_segment_size: 104
    .language:       OpenCL C
    .language_version:
      - 2
      - 0
    .max_flat_workgroup_size: 117
    .name:           bluestein_single_fwd_len507_dim1_dp_op_CI_CI
    .private_segment_fixed_size: 260
    .sgpr_count:     54
    .sgpr_spill_count: 0
    .symbol:         bluestein_single_fwd_len507_dim1_dp_op_CI_CI.kd
    .uniform_work_group_size: 1
    .uses_dynamic_stack: false
    .vgpr_count:     256
    .vgpr_spill_count: 64
    .wavefront_size: 32
    .workgroup_processor_mode: 1
amdhsa.target:   amdgcn-amd-amdhsa--gfx1030
amdhsa.version:
  - 1
  - 2
...

	.end_amdgpu_metadata
